;; amdgpu-corpus repo=ROCm/rocFFT kind=compiled arch=gfx906 opt=O3
	.text
	.amdgcn_target "amdgcn-amd-amdhsa--gfx906"
	.amdhsa_code_object_version 6
	.protected	bluestein_single_fwd_len1248_dim1_half_op_CI_CI ; -- Begin function bluestein_single_fwd_len1248_dim1_half_op_CI_CI
	.globl	bluestein_single_fwd_len1248_dim1_half_op_CI_CI
	.p2align	8
	.type	bluestein_single_fwd_len1248_dim1_half_op_CI_CI,@function
bluestein_single_fwd_len1248_dim1_half_op_CI_CI: ; @bluestein_single_fwd_len1248_dim1_half_op_CI_CI
; %bb.0:
	s_load_dwordx4 s[16:19], s[4:5], 0x28
	v_mul_u32_u24_e32 v1, 0x4ed, v0
	v_add_u32_sdwa v12, s6, v1 dst_sel:DWORD dst_unused:UNUSED_PAD src0_sel:DWORD src1_sel:WORD_1
	v_mov_b32_e32 v13, 0
	s_waitcnt lgkmcnt(0)
	v_cmp_gt_u64_e32 vcc, s[16:17], v[12:13]
	s_and_saveexec_b64 s[0:1], vcc
	s_cbranch_execz .LBB0_10
; %bb.1:
	s_load_dwordx4 s[8:11], s[4:5], 0x18
	s_load_dwordx4 s[12:15], s[4:5], 0x0
	v_mov_b32_e32 v2, 52
	v_mul_lo_u16_sdwa v1, v1, v2 dst_sel:DWORD dst_unused:UNUSED_PAD src0_sel:WORD_1 src1_sel:DWORD
	v_sub_u16_e32 v73, v0, v1
	s_waitcnt lgkmcnt(0)
	s_load_dwordx4 s[0:3], s[8:9], 0x0
	v_lshlrev_b32_e32 v69, 2, v73
	s_load_dwordx4 s[8:11], s[10:11], 0x0
	v_or_b32_e32 v61, 0x340, v73
	v_mov_b32_e32 v8, s13
	s_waitcnt lgkmcnt(0)
	v_mad_u64_u32 v[0:1], s[6:7], s2, v12, 0
	v_mad_u64_u32 v[2:3], s[6:7], s0, v73, 0
	s_mul_hi_u32 s6, s0, 0x9c0
	s_mul_hi_u32 s16, s0, 0xfffff710
	v_mad_u64_u32 v[4:5], s[2:3], s3, v12, v[1:2]
	s_mul_i32 s7, s1, 0xfffff710
	s_sub_i32 s16, s16, s0
	v_mad_u64_u32 v[5:6], s[2:3], s1, v73, v[3:4]
	v_mov_b32_e32 v1, v4
	v_lshlrev_b64 v[0:1], 2, v[0:1]
	v_mov_b32_e32 v6, s19
	v_mov_b32_e32 v3, v5
	v_add_co_u32_e32 v5, vcc, s18, v0
	v_addc_co_u32_e32 v6, vcc, v6, v1, vcc
	v_lshlrev_b64 v[0:1], 2, v[2:3]
	s_mul_i32 s3, s1, 0x9c0
	v_add_co_u32_e32 v0, vcc, v5, v0
	v_addc_co_u32_e32 v1, vcc, v6, v1, vcc
	global_load_dword v7, v[0:1], off
	s_mul_i32 s2, s0, 0x9c0
	s_add_i32 s3, s6, s3
	v_mov_b32_e32 v2, s3
	v_add_co_u32_e32 v0, vcc, s2, v0
	v_addc_co_u32_e32 v1, vcc, v1, v2, vcc
	global_load_dword v75, v69, s[12:13]
	global_load_dword v72, v69, s[12:13] offset:208
	global_load_dword v70, v69, s[12:13] offset:416
	global_load_dword v67, v69, s[12:13] offset:624
	global_load_dword v74, v69, s[12:13] offset:2496
	global_load_dword v71, v69, s[12:13] offset:2704
	global_load_dword v68, v69, s[12:13] offset:2912
	global_load_dword v66, v69, s[12:13] offset:3120
	global_load_dword v9, v[0:1], off
	s_mul_i32 s6, s0, 0xfffff710
	s_add_i32 s7, s16, s7
	v_mov_b32_e32 v2, s7
	v_add_co_u32_e32 v0, vcc, s6, v0
	v_addc_co_u32_e32 v1, vcc, v1, v2, vcc
	global_load_dword v10, v[0:1], off
	v_mov_b32_e32 v4, s3
	v_add_co_u32_e32 v0, vcc, s2, v0
	v_addc_co_u32_e32 v1, vcc, v1, v4, vcc
	global_load_dword v11, v[0:1], off
	;; [unrolled: 4-line block ×4, first 2 shown]
	v_mov_b32_e32 v4, s7
	v_add_co_u32_e32 v0, vcc, s6, v0
	v_mad_u64_u32 v[2:3], s[16:17], s0, v61, 0
	v_addc_co_u32_e32 v1, vcc, v1, v4, vcc
	global_load_dword v17, v[0:1], off
	v_mov_b32_e32 v15, s3
	v_add_co_u32_e32 v0, vcc, s2, v0
	v_mad_u64_u32 v[3:4], s[16:17], s1, v61, v[3:4]
	v_addc_co_u32_e32 v1, vcc, v1, v15, vcc
	global_load_dword v15, v[0:1], off
	v_mov_b32_e32 v16, s7
	v_add_co_u32_e32 v0, vcc, s6, v0
	v_addc_co_u32_e32 v1, vcc, v1, v16, vcc
	global_load_dword v16, v[0:1], off
	v_lshlrev_b64 v[2:3], 2, v[2:3]
	global_load_dword v65, v69, s[12:13] offset:832
	v_add_co_u32_e32 v2, vcc, v5, v2
	v_addc_co_u32_e32 v3, vcc, v6, v3, vcc
	global_load_dword v5, v[2:3], off
	global_load_dword v63, v69, s[12:13] offset:3328
	v_mov_b32_e32 v2, 0xd0
	v_mad_u64_u32 v[1:2], s[16:17], s0, v2, v[0:1]
	s_mul_i32 s0, s1, 0xd0
	v_add_co_u32_e32 v6, vcc, s12, v69
	v_add_u32_e32 v2, s0, v2
	global_load_dword v18, v[1:2], off
	global_load_dword v62, v69, s[12:13] offset:1040
	global_load_dword v59, v69, s[12:13] offset:1248
	;; [unrolled: 1-line block ×7, first 2 shown]
	v_addc_co_u32_e32 v8, vcc, 0, v8, vcc
	s_movk_i32 s0, 0x1000
	v_mov_b32_e32 v19, s3
	v_mov_b32_e32 v21, s7
	;; [unrolled: 1-line block ×3, first 2 shown]
	s_waitcnt vmcnt(27)
	v_lshrrev_b32_e32 v4, 16, v7
	s_waitcnt vmcnt(26)
	v_mul_f16_sdwa v0, v75, v4 dst_sel:DWORD dst_unused:UNUSED_PAD src0_sel:WORD_1 src1_sel:DWORD
	v_mul_f16_sdwa v3, v75, v7 dst_sel:DWORD dst_unused:UNUSED_PAD src0_sel:WORD_1 src1_sel:DWORD
	v_fma_f16 v0, v75, v7, v0
	v_fma_f16 v3, v75, v4, -v3
	v_pack_b32_f16 v0, v0, v3
	v_add_u32_e32 v76, 0xa00, v69
	v_lshlrev_b32_e32 v38, 3, v73
	v_lshlrev_b32_e32 v120, 1, v73
	s_waitcnt vmcnt(18)
	v_lshrrev_b32_e32 v3, 16, v9
	v_mul_f16_sdwa v4, v74, v3 dst_sel:DWORD dst_unused:UNUSED_PAD src0_sel:WORD_1 src1_sel:DWORD
	v_mul_f16_sdwa v7, v74, v9 dst_sel:DWORD dst_unused:UNUSED_PAD src0_sel:WORD_1 src1_sel:DWORD
	v_fma_f16 v4, v74, v9, v4
	v_fma_f16 v3, v74, v3, -v7
	v_pack_b32_f16 v3, v4, v3
	ds_write_b32 v69, v3 offset:2496
	s_movk_i32 s1, 0x2fc
	s_waitcnt vmcnt(17)
	v_lshrrev_b32_e32 v3, 16, v10
	v_mul_f16_sdwa v4, v72, v3 dst_sel:DWORD dst_unused:UNUSED_PAD src0_sel:WORD_1 src1_sel:DWORD
	v_mul_f16_sdwa v7, v72, v10 dst_sel:DWORD dst_unused:UNUSED_PAD src0_sel:WORD_1 src1_sel:DWORD
	v_fma_f16 v4, v72, v10, v4
	v_fma_f16 v3, v72, v3, -v7
	v_pack_b32_f16 v3, v4, v3
	ds_write2_b32 v69, v0, v3 offset1:52
	s_waitcnt vmcnt(16)
	v_lshrrev_b32_e32 v0, 16, v11
	v_mul_f16_sdwa v3, v71, v0 dst_sel:DWORD dst_unused:UNUSED_PAD src0_sel:WORD_1 src1_sel:DWORD
	v_mul_f16_sdwa v4, v71, v11 dst_sel:DWORD dst_unused:UNUSED_PAD src0_sel:WORD_1 src1_sel:DWORD
	v_fma_f16 v3, v71, v11, v3
	v_fma_f16 v0, v71, v0, -v4
	v_pack_b32_f16 v3, v3, v0
	s_waitcnt vmcnt(15)
	v_lshrrev_b32_e32 v0, 16, v13
	v_mul_f16_sdwa v4, v70, v0 dst_sel:DWORD dst_unused:UNUSED_PAD src0_sel:WORD_1 src1_sel:DWORD
	v_mul_f16_sdwa v7, v70, v13 dst_sel:DWORD dst_unused:UNUSED_PAD src0_sel:WORD_1 src1_sel:DWORD
	v_fma_f16 v4, v70, v13, v4
	v_fma_f16 v0, v70, v0, -v7
	v_pack_b32_f16 v7, v4, v0
	;; [unrolled: 7-line block ×3, first 2 shown]
	v_add_u32_e32 v0, 0x800, v69
	ds_write2_b32 v0, v3, v4 offset0:164 offset1:216
	s_waitcnt vmcnt(13)
	v_lshrrev_b32_e32 v9, 16, v17
	v_mov_b32_e32 v4, s3
	v_add_co_u32_e32 v3, vcc, s2, v1
	v_addc_co_u32_e32 v4, vcc, v2, v4, vcc
	v_mul_f16_sdwa v1, v67, v9 dst_sel:DWORD dst_unused:UNUSED_PAD src0_sel:WORD_1 src1_sel:DWORD
	v_mul_f16_sdwa v2, v67, v17 dst_sel:DWORD dst_unused:UNUSED_PAD src0_sel:WORD_1 src1_sel:DWORD
	v_fma_f16 v1, v67, v17, v1
	v_fma_f16 v2, v67, v9, -v2
	v_pack_b32_f16 v1, v1, v2
	ds_write2_b32 v69, v7, v1 offset0:104 offset1:156
	s_waitcnt vmcnt(12)
	v_lshrrev_b32_e32 v1, 16, v15
	v_mul_f16_sdwa v2, v66, v1 dst_sel:DWORD dst_unused:UNUSED_PAD src0_sel:WORD_1 src1_sel:DWORD
	v_mul_f16_sdwa v7, v66, v15 dst_sel:DWORD dst_unused:UNUSED_PAD src0_sel:WORD_1 src1_sel:DWORD
	v_fma_f16 v2, v66, v15, v2
	v_fma_f16 v1, v66, v1, -v7
	v_pack_b32_f16 v2, v2, v1
	s_waitcnt vmcnt(11)
	v_lshrrev_b32_e32 v1, 16, v16
	s_waitcnt vmcnt(10)
	v_mul_f16_sdwa v7, v65, v1 dst_sel:DWORD dst_unused:UNUSED_PAD src0_sel:WORD_1 src1_sel:DWORD
	v_mul_f16_sdwa v9, v65, v16 dst_sel:DWORD dst_unused:UNUSED_PAD src0_sel:WORD_1 src1_sel:DWORD
	v_fma_f16 v7, v65, v16, v7
	v_fma_f16 v1, v65, v1, -v9
	v_pack_b32_f16 v7, v7, v1
	s_waitcnt vmcnt(9)
	v_lshrrev_b32_e32 v1, 16, v5
	s_waitcnt vmcnt(8)
	v_mul_f16_sdwa v9, v63, v1 dst_sel:DWORD dst_unused:UNUSED_PAD src0_sel:WORD_1 src1_sel:DWORD
	v_fma_f16 v9, v63, v5, v9
	v_mul_f16_sdwa v5, v63, v5 dst_sel:DWORD dst_unused:UNUSED_PAD src0_sel:WORD_1 src1_sel:DWORD
	v_fma_f16 v1, v63, v1, -v5
	v_pack_b32_f16 v5, v9, v1
	v_add_u32_e32 v1, 0xc00, v69
	global_load_dword v10, v[3:4], off
	global_load_dword v64, v69, s[12:13] offset:3536
	global_load_dword v60, v69, s[12:13] offset:3744
	;; [unrolled: 1-line block ×3, first 2 shown]
	ds_write2_b32 v1, v2, v5 offset0:12 offset1:64
	s_waitcnt vmcnt(11)
	v_lshrrev_b32_e32 v2, 16, v18
	s_waitcnt vmcnt(10)
	v_mul_f16_sdwa v5, v62, v2 dst_sel:DWORD dst_unused:UNUSED_PAD src0_sel:WORD_1 src1_sel:DWORD
	v_mul_f16_sdwa v9, v62, v18 dst_sel:DWORD dst_unused:UNUSED_PAD src0_sel:WORD_1 src1_sel:DWORD
	v_fma_f16 v5, v62, v18, v5
	v_fma_f16 v2, v62, v2, -v9
	v_pack_b32_f16 v5, v5, v2
	v_add_u32_e32 v2, 0x200, v69
	ds_write2_b32 v2, v7, v5 offset0:80 offset1:132
	v_mov_b32_e32 v5, s7
	v_add_co_u32_e32 v3, vcc, s6, v3
	v_addc_co_u32_e32 v4, vcc, v4, v5, vcc
	global_load_dword v7, v[3:4], off
	v_mov_b32_e32 v5, s3
	v_add_co_u32_e32 v3, vcc, s2, v3
	v_addc_co_u32_e32 v4, vcc, v4, v5, vcc
	global_load_dword v9, v[3:4], off
	;; [unrolled: 4-line block ×5, first 2 shown]
	v_mov_b32_e32 v5, s3
	v_add_co_u32_e32 v3, vcc, s2, v3
	v_addc_co_u32_e32 v4, vcc, v4, v5, vcc
	v_add_co_u32_e32 v5, vcc, s0, v6
	global_load_dword v15, v[3:4], off
	v_addc_co_u32_e32 v6, vcc, 0, v8, vcc
	global_load_dword v56, v[5:6], off offset:64
	v_mov_b32_e32 v16, s7
	v_add_co_u32_e32 v3, vcc, s6, v3
	v_addc_co_u32_e32 v4, vcc, v4, v16, vcc
	global_load_dword v16, v[3:4], off
	v_mov_b32_e32 v17, s3
	v_add_co_u32_e32 v3, vcc, s2, v3
	v_addc_co_u32_e32 v4, vcc, v4, v17, vcc
	global_load_dword v17, v[3:4], off
	global_load_dword v54, v[5:6], off offset:272
	v_mov_b32_e32 v18, s7
	v_add_co_u32_e32 v3, vcc, s6, v3
	v_addc_co_u32_e32 v4, vcc, v4, v18, vcc
	global_load_dword v18, v[3:4], off
	v_add_co_u32_e32 v3, vcc, s2, v3
	v_addc_co_u32_e32 v4, vcc, v4, v19, vcc
	global_load_dword v19, v[3:4], off
	global_load_dword v52, v[5:6], off offset:480
	v_add_co_u32_e32 v3, vcc, s6, v3
	v_addc_co_u32_e32 v4, vcc, v4, v21, vcc
	global_load_dword v21, v[3:4], off
	v_add_co_u32_e32 v3, vcc, s2, v3
	v_addc_co_u32_e32 v4, vcc, v4, v22, vcc
	global_load_dword v22, v[3:4], off
	global_load_dword v50, v[5:6], off offset:688
	s_waitcnt vmcnt(19)
	v_lshrrev_b32_e32 v8, 16, v10
	s_waitcnt vmcnt(18)
	v_mul_f16_sdwa v20, v64, v8 dst_sel:DWORD dst_unused:UNUSED_PAD src0_sel:WORD_1 src1_sel:DWORD
	v_mul_f16_sdwa v3, v64, v10 dst_sel:DWORD dst_unused:UNUSED_PAD src0_sel:WORD_1 src1_sel:DWORD
	v_fma_f16 v20, v64, v10, v20
	v_fma_f16 v3, v64, v8, -v3
	v_pack_b32_f16 v3, v20, v3
	s_movk_i32 s0, 0x68
	v_add_co_u32_e32 v91, vcc, s0, v73
	s_movk_i32 s0, 0x9c
	v_add_co_u32_e32 v92, vcc, s0, v73
	s_waitcnt vmcnt(15)
	v_lshrrev_b32_e32 v4, 16, v7
	v_mul_f16_sdwa v5, v59, v4 dst_sel:DWORD dst_unused:UNUSED_PAD src0_sel:WORD_1 src1_sel:DWORD
	v_mul_f16_sdwa v6, v59, v7 dst_sel:DWORD dst_unused:UNUSED_PAD src0_sel:WORD_1 src1_sel:DWORD
	v_fma_f16 v5, v59, v7, v5
	v_fma_f16 v4, v59, v4, -v6
	v_pack_b32_f16 v5, v5, v4
	s_waitcnt vmcnt(14)
	v_lshrrev_b32_e32 v4, 16, v9
	v_mul_f16_sdwa v6, v60, v4 dst_sel:DWORD dst_unused:UNUSED_PAD src0_sel:WORD_1 src1_sel:DWORD
	v_mul_f16_sdwa v7, v60, v9 dst_sel:DWORD dst_unused:UNUSED_PAD src0_sel:WORD_1 src1_sel:DWORD
	v_fma_f16 v6, v60, v9, v6
	v_fma_f16 v4, v60, v4, -v7
	v_pack_b32_f16 v4, v6, v4
	ds_write2_b32 v1, v3, v4 offset0:116 offset1:168
	s_waitcnt vmcnt(13)
	v_lshrrev_b32_e32 v3, 16, v11
	v_mul_f16_sdwa v4, v57, v3 dst_sel:DWORD dst_unused:UNUSED_PAD src0_sel:WORD_1 src1_sel:DWORD
	v_mul_f16_sdwa v6, v57, v11 dst_sel:DWORD dst_unused:UNUSED_PAD src0_sel:WORD_1 src1_sel:DWORD
	v_fma_f16 v4, v57, v11, v4
	v_fma_f16 v3, v57, v3, -v6
	v_pack_b32_f16 v3, v4, v3
	v_add_u32_e32 v4, 0x400, v69
	ds_write2_b32 v4, v5, v3 offset0:56 offset1:108
	s_waitcnt vmcnt(12)
	v_lshrrev_b32_e32 v3, 16, v13
	v_mul_f16_sdwa v5, v58, v3 dst_sel:DWORD dst_unused:UNUSED_PAD src0_sel:WORD_1 src1_sel:DWORD
	v_mul_f16_sdwa v6, v58, v13 dst_sel:DWORD dst_unused:UNUSED_PAD src0_sel:WORD_1 src1_sel:DWORD
	v_fma_f16 v5, v58, v13, v5
	v_fma_f16 v3, v58, v3, -v6
	v_pack_b32_f16 v5, v5, v3
	s_waitcnt vmcnt(11)
	v_lshrrev_b32_e32 v3, 16, v14
	v_mul_f16_sdwa v6, v55, v3 dst_sel:DWORD dst_unused:UNUSED_PAD src0_sel:WORD_1 src1_sel:DWORD
	v_mul_f16_sdwa v7, v55, v14 dst_sel:DWORD dst_unused:UNUSED_PAD src0_sel:WORD_1 src1_sel:DWORD
	v_fma_f16 v6, v55, v14, v6
	v_fma_f16 v3, v55, v3, -v7
	v_pack_b32_f16 v6, v6, v3
	s_waitcnt vmcnt(10)
	v_lshrrev_b32_e32 v3, 16, v15
	s_waitcnt vmcnt(9)
	v_mul_f16_sdwa v7, v56, v3 dst_sel:DWORD dst_unused:UNUSED_PAD src0_sel:WORD_1 src1_sel:DWORD
	v_mul_f16_sdwa v8, v56, v15 dst_sel:DWORD dst_unused:UNUSED_PAD src0_sel:WORD_1 src1_sel:DWORD
	v_fma_f16 v7, v56, v15, v7
	v_fma_f16 v3, v56, v3, -v8
	v_pack_b32_f16 v7, v7, v3
	v_add_u32_e32 v3, 0xe00, v69
	ds_write2_b32 v3, v5, v7 offset0:92 offset1:144
	s_waitcnt vmcnt(8)
	v_lshrrev_b32_e32 v5, 16, v16
	v_mul_f16_sdwa v7, v53, v5 dst_sel:DWORD dst_unused:UNUSED_PAD src0_sel:WORD_1 src1_sel:DWORD
	v_mul_f16_sdwa v8, v53, v16 dst_sel:DWORD dst_unused:UNUSED_PAD src0_sel:WORD_1 src1_sel:DWORD
	v_fma_f16 v7, v53, v16, v7
	v_fma_f16 v5, v53, v5, -v8
	v_pack_b32_f16 v5, v7, v5
	ds_write2_b32 v4, v6, v5 offset0:160 offset1:212
	s_waitcnt vmcnt(7)
	v_lshrrev_b32_e32 v5, 16, v17
	s_waitcnt vmcnt(6)
	v_mul_f16_sdwa v6, v54, v5 dst_sel:DWORD dst_unused:UNUSED_PAD src0_sel:WORD_1 src1_sel:DWORD
	v_mul_f16_sdwa v7, v54, v17 dst_sel:DWORD dst_unused:UNUSED_PAD src0_sel:WORD_1 src1_sel:DWORD
	v_fma_f16 v6, v54, v17, v6
	v_fma_f16 v5, v54, v5, -v7
	v_pack_b32_f16 v5, v6, v5
	s_waitcnt vmcnt(5)
	v_lshrrev_b32_e32 v6, 16, v18
	v_mul_f16_sdwa v7, v51, v6 dst_sel:DWORD dst_unused:UNUSED_PAD src0_sel:WORD_1 src1_sel:DWORD
	v_mul_f16_sdwa v8, v51, v18 dst_sel:DWORD dst_unused:UNUSED_PAD src0_sel:WORD_1 src1_sel:DWORD
	v_fma_f16 v7, v51, v18, v7
	v_fma_f16 v6, v51, v6, -v8
	v_pack_b32_f16 v6, v7, v6
	s_waitcnt vmcnt(4)
	v_lshrrev_b32_e32 v7, 16, v19
	s_waitcnt vmcnt(3)
	v_mul_f16_sdwa v8, v52, v7 dst_sel:DWORD dst_unused:UNUSED_PAD src0_sel:WORD_1 src1_sel:DWORD
	v_mul_f16_sdwa v9, v52, v19 dst_sel:DWORD dst_unused:UNUSED_PAD src0_sel:WORD_1 src1_sel:DWORD
	v_fma_f16 v8, v52, v19, v8
	v_fma_f16 v7, v52, v7, -v9
	v_pack_b32_f16 v7, v8, v7
	v_add_u32_e32 v11, 0x1000, v69
	ds_write2_b32 v11, v5, v7 offset0:68 offset1:120
	s_waitcnt vmcnt(2)
	v_lshrrev_b32_e32 v5, 16, v21
	v_mul_f16_sdwa v7, v49, v5 dst_sel:DWORD dst_unused:UNUSED_PAD src0_sel:WORD_1 src1_sel:DWORD
	v_mul_f16_sdwa v8, v49, v21 dst_sel:DWORD dst_unused:UNUSED_PAD src0_sel:WORD_1 src1_sel:DWORD
	v_fma_f16 v7, v49, v21, v7
	v_fma_f16 v5, v49, v5, -v8
	v_pack_b32_f16 v5, v7, v5
	ds_write2_b32 v0, v6, v5 offset0:8 offset1:60
	s_waitcnt vmcnt(1)
	v_lshrrev_b32_e32 v5, 16, v22
	s_waitcnt vmcnt(0)
	v_mul_f16_sdwa v6, v50, v5 dst_sel:DWORD dst_unused:UNUSED_PAD src0_sel:WORD_1 src1_sel:DWORD
	v_mul_f16_sdwa v7, v50, v22 dst_sel:DWORD dst_unused:UNUSED_PAD src0_sel:WORD_1 src1_sel:DWORD
	v_fma_f16 v6, v50, v22, v6
	v_fma_f16 v5, v50, v5, -v7
	v_pack_b32_f16 v5, v6, v5
	ds_write_b32 v69, v5 offset:4784
	s_waitcnt lgkmcnt(0)
	; wave barrier
	s_waitcnt lgkmcnt(0)
	ds_read2_b32 v[5:6], v69 offset1:52
	ds_read2_b32 v[7:8], v0 offset0:112 offset1:164
	ds_read2_b32 v[13:14], v69 offset0:104 offset1:156
	;; [unrolled: 1-line block ×5, first 2 shown]
	s_movk_i32 s0, 0xd0
	v_add_co_u32_e32 v119, vcc, s0, v73
	s_waitcnt lgkmcnt(2)
	v_pk_add_f16 v22, v13, v15 neg_lo:[0,1] neg_hi:[0,1]
	s_waitcnt lgkmcnt(0)
	v_pk_add_f16 v24, v17, v19 neg_lo:[0,1] neg_hi:[0,1]
	v_pk_add_f16 v15, v14, v16 neg_lo:[0,1] neg_hi:[0,1]
	v_pk_fma_f16 v23, v17, 2.0, v24 op_sel_hi:[1,0,1] neg_lo:[0,0,1] neg_hi:[0,0,1]
	ds_read2_b32 v[16:17], v4 offset0:56 offset1:108
	ds_read2_b32 v[25:26], v1 offset0:168 offset1:220
	s_movk_i32 s0, 0x104
	ds_read2_b32 v[27:28], v4 offset0:160 offset1:212
	ds_read2_b32 v[29:30], v11 offset0:16 offset1:68
	v_add_co_u32_e32 v118, vcc, s0, v73
	s_waitcnt lgkmcnt(2)
	v_pk_add_f16 v32, v16, v25 neg_lo:[0,1] neg_hi:[0,1]
	v_pk_add_f16 v26, v17, v26 neg_lo:[0,1] neg_hi:[0,1]
	v_pk_fma_f16 v31, v16, 2.0, v32 op_sel_hi:[1,0,1] neg_lo:[0,0,1] neg_hi:[0,0,1]
	v_pk_fma_f16 v25, v17, 2.0, v26 op_sel_hi:[1,0,1] neg_lo:[0,0,1] neg_hi:[0,0,1]
	ds_read2_b32 v[16:17], v0 offset0:8 offset1:60
	ds_read2_b32 v[33:34], v11 offset0:120 offset1:172
	s_movk_i32 s0, 0x138
	v_add_co_u32_e32 v117, vcc, s0, v73
	s_movk_i32 s0, 0x16c
	v_add_co_u32_e32 v116, vcc, s0, v73
	s_movk_i32 s0, 0x1a0
	v_add_co_u32_e32 v97, vcc, s0, v73
	s_movk_i32 s0, 0x1d4
	v_pk_add_f16 v10, v5, v7 neg_lo:[0,1] neg_hi:[0,1]
	v_pk_add_f16 v7, v6, v8 neg_lo:[0,1] neg_hi:[0,1]
	;; [unrolled: 1-line block ×3, first 2 shown]
	v_add_co_u32_e32 v77, vcc, 52, v73
	v_add_co_u32_e32 v98, vcc, s0, v73
	s_movk_i32 s0, 0x208
	v_pk_fma_f16 v9, v5, 2.0, v10 op_sel_hi:[1,0,1] neg_lo:[0,0,1] neg_hi:[0,0,1]
	v_pk_fma_f16 v6, v6, 2.0, v7 op_sel_hi:[1,0,1] neg_lo:[0,0,1] neg_hi:[0,0,1]
	;; [unrolled: 1-line block ×5, first 2 shown]
	s_waitcnt lgkmcnt(2)
	v_pk_add_f16 v36, v27, v29 neg_lo:[0,1] neg_hi:[0,1]
	v_pk_add_f16 v29, v28, v30 neg_lo:[0,1] neg_hi:[0,1]
	s_waitcnt lgkmcnt(0)
	v_pk_add_f16 v79, v16, v33 neg_lo:[0,1] neg_hi:[0,1]
	v_lshlrev_b32_e32 v39, 3, v77
	v_lshlrev_b32_e32 v40, 3, v91
	;; [unrolled: 1-line block ×6, first 2 shown]
	v_add_co_u32_e32 v99, vcc, s0, v73
	s_movk_i32 s0, 0x23c
	v_pk_fma_f16 v35, v27, 2.0, v36 op_sel_hi:[1,0,1] neg_lo:[0,0,1] neg_hi:[0,0,1]
	v_pk_fma_f16 v28, v28, 2.0, v29 op_sel_hi:[1,0,1] neg_lo:[0,0,1] neg_hi:[0,0,1]
	;; [unrolled: 1-line block ×3, first 2 shown]
	v_pk_add_f16 v34, v17, v34 neg_lo:[0,1] neg_hi:[0,1]
	s_waitcnt lgkmcnt(0)
	; wave barrier
	ds_write_b64 v38, v[9:10]
	ds_write_b64 v39, v[6:7]
	;; [unrolled: 1-line block ×7, first 2 shown]
	v_lshlrev_b32_e32 v45, 3, v116
	v_lshlrev_b32_e32 v46, 3, v97
	;; [unrolled: 1-line block ×4, first 2 shown]
	v_add_co_u32_e32 v100, vcc, s0, v73
	v_and_b32_e32 v31, 1, v73
	v_pk_fma_f16 v33, v17, 2.0, v34 op_sel_hi:[1,0,1] neg_lo:[0,0,1] neg_hi:[0,0,1]
	ds_write_b64 v45, v[25:26]
	ds_write_b64 v46, v[35:36]
	;; [unrolled: 1-line block ×4, first 2 shown]
	v_lshlrev_b32_e32 v78, 3, v100
	v_lshlrev_b32_e32 v5, 2, v31
	ds_write_b64 v78, v[33:34]
	s_waitcnt lgkmcnt(0)
	; wave barrier
	s_waitcnt lgkmcnt(0)
	global_load_dword v37, v5, s[14:15]
	ds_read2_b32 v[5:6], v0 offset0:112 offset1:164
	ds_read2_b32 v[7:8], v69 offset1:52
	s_movk_i32 s0, 0x7c
	s_load_dwordx2 s[2:3], s[4:5], 0x38
	v_cmp_gt_u16_e32 vcc, 44, v73
	s_waitcnt lgkmcnt(0)
	v_lshrrev_b32_e32 v9, 16, v5
                                        ; implicit-def: $vgpr110
                                        ; implicit-def: $vgpr109
                                        ; implicit-def: $vgpr111
	s_waitcnt vmcnt(0)
	v_mul_f16_sdwa v10, v5, v37 dst_sel:DWORD dst_unused:UNUSED_PAD src0_sel:DWORD src1_sel:WORD_1
	v_fma_f16 v10, v9, v37, v10
	v_mul_f16_sdwa v9, v9, v37 dst_sel:DWORD dst_unused:UNUSED_PAD src0_sel:DWORD src1_sel:WORD_1
	v_fma_f16 v5, v5, v37, -v9
	v_lshrrev_b32_e32 v9, 16, v7
	v_sub_f16_e32 v5, v7, v5
	v_sub_f16_e32 v10, v9, v10
	v_fma_f16 v9, v9, 2.0, -v10
	v_fma_f16 v7, v7, 2.0, -v5
	v_pack_b32_f16 v7, v7, v9
	v_pack_b32_f16 v5, v5, v10
	ds_read2_b32 v[9:10], v76 offset0:88 offset1:140
	ds_read2_b32 v[15:16], v11 offset0:16 offset1:68
	;; [unrolled: 1-line block ×10, first 2 shown]
	v_and_or_b32 v11, v120, s0, v31
	v_lshlrev_b32_e32 v79, 2, v11
	s_waitcnt lgkmcnt(0)
	; wave barrier
	s_waitcnt lgkmcnt(0)
	ds_write2_b32 v79, v7, v5 offset1:2
	v_lshrrev_b32_e32 v5, 16, v6
	v_mul_f16_sdwa v7, v5, v37 dst_sel:DWORD dst_unused:UNUSED_PAD src0_sel:DWORD src1_sel:WORD_1
	v_fma_f16 v7, v6, v37, -v7
	v_mul_f16_sdwa v6, v6, v37 dst_sel:DWORD dst_unused:UNUSED_PAD src0_sel:DWORD src1_sel:WORD_1
	v_fma_f16 v5, v5, v37, v6
	v_sub_f16_e32 v6, v8, v7
	v_lshrrev_b32_e32 v7, 16, v8
	v_sub_f16_e32 v5, v7, v5
	v_fma_f16 v8, v8, 2.0, -v6
	v_fma_f16 v7, v7, 2.0, -v5
	v_pack_b32_f16 v5, v6, v5
	s_movk_i32 s0, 0xfc
	v_lshlrev_b32_e32 v6, 1, v77
	v_and_or_b32 v6, v6, s0, v31
	v_pack_b32_f16 v7, v8, v7
	v_lshlrev_b32_e32 v80, 2, v6
	ds_write2_b32 v80, v7, v5 offset1:2
	v_lshrrev_b32_e32 v5, 16, v9
	v_mul_f16_sdwa v6, v9, v37 dst_sel:DWORD dst_unused:UNUSED_PAD src0_sel:DWORD src1_sel:WORD_1
	v_fma_f16 v6, v5, v37, v6
	v_mul_f16_sdwa v5, v5, v37 dst_sel:DWORD dst_unused:UNUSED_PAD src0_sel:DWORD src1_sel:WORD_1
	v_fma_f16 v5, v9, v37, -v5
	v_lshrrev_b32_e32 v7, 16, v13
	v_sub_f16_e32 v5, v13, v5
	v_sub_f16_e32 v6, v7, v6
	v_fma_f16 v7, v7, 2.0, -v6
	v_fma_f16 v8, v13, 2.0, -v5
	v_pack_b32_f16 v5, v5, v6
	s_movk_i32 s0, 0x1fc
	v_lshlrev_b32_e32 v6, 1, v91
	v_and_or_b32 v6, v6, s0, v31
	v_pack_b32_f16 v7, v8, v7
	v_lshlrev_b32_e32 v81, 2, v6
	ds_write2_b32 v81, v7, v5 offset1:2
	v_lshrrev_b32_e32 v5, 16, v10
	v_mul_f16_sdwa v6, v5, v37 dst_sel:DWORD dst_unused:UNUSED_PAD src0_sel:DWORD src1_sel:WORD_1
	v_mul_f16_sdwa v7, v10, v37 dst_sel:DWORD dst_unused:UNUSED_PAD src0_sel:DWORD src1_sel:WORD_1
	v_fma_f16 v6, v10, v37, -v6
	v_fma_f16 v5, v5, v37, v7
	v_lshrrev_b32_e32 v7, 16, v14
	v_sub_f16_e32 v6, v14, v6
	v_sub_f16_e32 v5, v7, v5
	v_fma_f16 v8, v14, 2.0, -v6
	v_fma_f16 v7, v7, 2.0, -v5
	v_pack_b32_f16 v5, v6, v5
	v_lshlrev_b32_e32 v6, 1, v92
	v_and_or_b32 v6, v6, s0, v31
	v_pack_b32_f16 v7, v8, v7
	v_lshlrev_b32_e32 v82, 2, v6
	ds_write2_b32 v82, v7, v5 offset1:2
	v_lshrrev_b32_e32 v5, 16, v19
	v_mul_f16_sdwa v6, v19, v37 dst_sel:DWORD dst_unused:UNUSED_PAD src0_sel:DWORD src1_sel:WORD_1
	v_fma_f16 v6, v5, v37, v6
	v_mul_f16_sdwa v5, v5, v37 dst_sel:DWORD dst_unused:UNUSED_PAD src0_sel:DWORD src1_sel:WORD_1
	v_fma_f16 v5, v19, v37, -v5
	v_lshrrev_b32_e32 v7, 16, v17
	v_sub_f16_e32 v5, v17, v5
	v_sub_f16_e32 v6, v7, v6
	v_fma_f16 v7, v7, 2.0, -v6
	v_fma_f16 v8, v17, 2.0, -v5
	v_pack_b32_f16 v5, v5, v6
	s_movk_i32 s0, 0x3fc
	v_lshlrev_b32_e32 v6, 1, v119
	v_and_or_b32 v6, v6, s0, v31
	v_pack_b32_f16 v7, v8, v7
	v_lshlrev_b32_e32 v83, 2, v6
	ds_write2_b32 v83, v7, v5 offset1:2
	v_lshrrev_b32_e32 v5, 16, v20
	v_mul_f16_sdwa v6, v5, v37 dst_sel:DWORD dst_unused:UNUSED_PAD src0_sel:DWORD src1_sel:WORD_1
	v_mul_f16_sdwa v7, v20, v37 dst_sel:DWORD dst_unused:UNUSED_PAD src0_sel:DWORD src1_sel:WORD_1
	v_fma_f16 v6, v20, v37, -v6
	v_fma_f16 v5, v5, v37, v7
	v_lshrrev_b32_e32 v7, 16, v18
	v_sub_f16_e32 v6, v18, v6
	v_sub_f16_e32 v5, v7, v5
	v_fma_f16 v8, v18, 2.0, -v6
	v_fma_f16 v7, v7, 2.0, -v5
	v_pack_b32_f16 v5, v6, v5
	v_lshlrev_b32_e32 v6, 1, v118
	v_and_or_b32 v6, v6, s1, v31
	v_pack_b32_f16 v7, v8, v7
	v_lshlrev_b32_e32 v84, 2, v6
	ds_write2_b32 v84, v7, v5 offset1:2
	v_lshrrev_b32_e32 v5, 16, v23
	v_mul_f16_sdwa v6, v23, v37 dst_sel:DWORD dst_unused:UNUSED_PAD src0_sel:DWORD src1_sel:WORD_1
	v_fma_f16 v6, v5, v37, v6
	v_mul_f16_sdwa v5, v5, v37 dst_sel:DWORD dst_unused:UNUSED_PAD src0_sel:DWORD src1_sel:WORD_1
	v_fma_f16 v5, v23, v37, -v5
	v_lshrrev_b32_e32 v7, 16, v21
	v_sub_f16_e32 v93, v7, v6
	v_sub_f16_e32 v13, v21, v5
	v_fma_f16 v6, v7, 2.0, -v93
	v_fma_f16 v5, v21, 2.0, -v13
	v_pack_b32_f16 v5, v5, v6
	v_lshlrev_b32_e32 v6, 1, v117
	v_and_or_b32 v6, v6, s1, v31
	v_lshlrev_b32_e32 v85, 2, v6
	v_pack_b32_f16 v6, v13, v93
	ds_write2_b32 v85, v5, v6 offset1:2
	v_lshrrev_b32_e32 v5, 16, v24
	v_mul_f16_sdwa v6, v5, v37 dst_sel:DWORD dst_unused:UNUSED_PAD src0_sel:DWORD src1_sel:WORD_1
	v_fma_f16 v6, v24, v37, -v6
	v_mul_f16_sdwa v7, v24, v37 dst_sel:DWORD dst_unused:UNUSED_PAD src0_sel:DWORD src1_sel:WORD_1
	v_sub_f16_e32 v17, v22, v6
	v_lshrrev_b32_e32 v6, 16, v22
	v_fma_f16 v5, v5, v37, v7
	v_sub_f16_e32 v94, v6, v5
	v_lshlrev_b32_e32 v5, 1, v116
	v_fma_f16 v14, v22, 2.0, -v17
	v_fma_f16 v95, v6, 2.0, -v94
	v_and_or_b32 v5, v5, s0, v31
	v_lshlrev_b32_e32 v86, 2, v5
	v_pack_b32_f16 v5, v14, v95
	v_pack_b32_f16 v6, v17, v94
	ds_write2_b32 v86, v5, v6 offset1:2
	v_lshrrev_b32_e32 v5, 16, v15
	v_mul_f16_sdwa v6, v15, v37 dst_sel:DWORD dst_unused:UNUSED_PAD src0_sel:DWORD src1_sel:WORD_1
	v_fma_f16 v6, v5, v37, v6
	v_mul_f16_sdwa v5, v5, v37 dst_sel:DWORD dst_unused:UNUSED_PAD src0_sel:DWORD src1_sel:WORD_1
	v_fma_f16 v5, v15, v37, -v5
	v_lshrrev_b32_e32 v7, 16, v27
	v_sub_f16_e32 v96, v7, v6
	v_sub_f16_e32 v19, v27, v5
	v_lshlrev_b32_e32 v5, 1, v97
	v_fma_f16 v18, v27, 2.0, -v19
	v_fma_f16 v101, v7, 2.0, -v96
	v_and_or_b32 v5, v5, s0, v31
	v_lshlrev_b32_e32 v87, 2, v5
	v_pack_b32_f16 v5, v18, v101
	v_pack_b32_f16 v6, v19, v96
	ds_write2_b32 v87, v5, v6 offset1:2
	v_lshrrev_b32_e32 v5, 16, v16
	v_mul_f16_sdwa v6, v5, v37 dst_sel:DWORD dst_unused:UNUSED_PAD src0_sel:DWORD src1_sel:WORD_1
	v_fma_f16 v6, v16, v37, -v6
	v_mul_f16_sdwa v7, v16, v37 dst_sel:DWORD dst_unused:UNUSED_PAD src0_sel:DWORD src1_sel:WORD_1
	v_sub_f16_e32 v21, v28, v6
	v_lshrrev_b32_e32 v6, 16, v28
	v_fma_f16 v5, v5, v37, v7
	v_sub_f16_e32 v103, v6, v5
	s_movk_i32 s0, 0x7fc
	v_lshlrev_b32_e32 v5, 1, v98
	v_fma_f16 v20, v28, 2.0, -v21
	v_fma_f16 v102, v6, 2.0, -v103
	v_and_or_b32 v5, v5, s0, v31
	v_lshlrev_b32_e32 v88, 2, v5
	v_pack_b32_f16 v5, v20, v102
	v_pack_b32_f16 v6, v21, v103
	ds_write2_b32 v88, v5, v6 offset1:2
	v_lshrrev_b32_e32 v5, 16, v25
	v_mul_f16_sdwa v6, v25, v37 dst_sel:DWORD dst_unused:UNUSED_PAD src0_sel:DWORD src1_sel:WORD_1
	v_fma_f16 v6, v5, v37, v6
	v_mul_f16_sdwa v5, v5, v37 dst_sel:DWORD dst_unused:UNUSED_PAD src0_sel:DWORD src1_sel:WORD_1
	v_fma_f16 v5, v25, v37, -v5
	v_lshrrev_b32_e32 v7, 16, v29
	v_sub_f16_e32 v105, v7, v6
	v_sub_f16_e32 v23, v29, v5
	s_movk_i32 s0, 0x4fc
	v_lshlrev_b32_e32 v5, 1, v99
	v_fma_f16 v22, v29, 2.0, -v23
	v_fma_f16 v104, v7, 2.0, -v105
	v_and_or_b32 v5, v5, s0, v31
	v_lshlrev_b32_e32 v89, 2, v5
	v_pack_b32_f16 v5, v22, v104
	v_pack_b32_f16 v6, v23, v105
	ds_write2_b32 v89, v5, v6 offset1:2
	v_lshrrev_b32_e32 v5, 16, v26
	v_mul_f16_sdwa v6, v5, v37 dst_sel:DWORD dst_unused:UNUSED_PAD src0_sel:DWORD src1_sel:WORD_1
	v_fma_f16 v6, v26, v37, -v6
	v_mul_f16_sdwa v7, v26, v37 dst_sel:DWORD dst_unused:UNUSED_PAD src0_sel:DWORD src1_sel:WORD_1
	v_sub_f16_e32 v25, v30, v6
	v_lshrrev_b32_e32 v6, 16, v30
	v_fma_f16 v5, v5, v37, v7
	v_lshlrev_b32_e32 v7, 1, v100
	v_sub_f16_e32 v106, v6, v5
	v_fma_f16 v24, v30, 2.0, -v25
	v_and_or_b32 v7, v7, s0, v31
	v_fma_f16 v107, v6, 2.0, -v106
	v_lshlrev_b32_e32 v90, 2, v7
	v_pack_b32_f16 v5, v24, v107
	v_pack_b32_f16 v6, v25, v106
	ds_write2_b32 v90, v5, v6 offset1:2
	s_waitcnt lgkmcnt(0)
	; wave barrier
	s_waitcnt lgkmcnt(0)
	ds_read2_b32 v[29:30], v4 offset0:128 offset1:224
	ds_read_b32 v108, v69 offset:4608
	ds_read2_b32 v[15:16], v69 offset1:96
	ds_read2_b32 v[35:36], v2 offset0:64 offset1:160
	ds_read2_b32 v[33:34], v0 offset0:64 offset1:160
	ds_read2_b32 v[31:32], v1 offset1:96
	ds_read2_b32 v[27:28], v3 offset0:64 offset1:160
	s_and_saveexec_b64 s[0:1], vcc
	s_cbranch_execz .LBB0_3
; %bb.2:
	ds_read2_b32 v[13:14], v69 offset0:52 offset1:148
	ds_read2_b32 v[17:18], v2 offset0:116 offset1:212
	v_add_u32_e32 v2, 0x600, v69
	ds_read2_b32 v[19:20], v2 offset0:52 offset1:148
	ds_read2_b32 v[21:22], v0 offset0:116 offset1:212
	;; [unrolled: 1-line block ×4, first 2 shown]
	ds_read_b32 v109, v69 offset:4816
	s_waitcnt lgkmcnt(6)
	v_lshrrev_b32_e32 v93, 16, v13
	v_lshrrev_b32_e32 v95, 16, v14
	s_waitcnt lgkmcnt(5)
	v_lshrrev_b32_e32 v94, 16, v17
	v_lshrrev_b32_e32 v101, 16, v18
	;; [unrolled: 3-line block ×6, first 2 shown]
	s_waitcnt lgkmcnt(0)
	v_lshrrev_b32_e32 v111, 16, v109
.LBB0_3:
	s_or_b64 exec, exec, s[0:1]
	v_and_b32_e32 v76, 3, v73
	v_mul_u32_u24_e32 v0, 12, v76
	v_lshlrev_b32_e32 v112, 2, v0
	global_load_dwordx4 v[4:7], v112, s[14:15] offset:8
	global_load_dwordx4 v[0:3], v112, s[14:15] offset:24
	;; [unrolled: 1-line block ×3, first 2 shown]
	s_waitcnt lgkmcnt(4)
	v_lshrrev_b32_e32 v112, 16, v16
	s_waitcnt lgkmcnt(3)
	v_lshrrev_b32_e32 v113, 16, v35
	v_lshrrev_b32_e32 v115, 16, v29
	;; [unrolled: 1-line block ×3, first 2 shown]
	s_waitcnt lgkmcnt(1)
	v_lshrrev_b32_e32 v124, 16, v31
	v_lshrrev_b32_e32 v121, 16, v30
	;; [unrolled: 1-line block ×5, first 2 shown]
	s_waitcnt lgkmcnt(0)
	v_lshrrev_b32_e32 v126, 16, v27
	v_lshrrev_b32_e32 v127, 16, v28
	;; [unrolled: 1-line block ×3, first 2 shown]
	s_movk_i32 s4, 0x3b15
	s_movk_i32 s5, 0x388b
	;; [unrolled: 1-line block ×3, first 2 shown]
	s_mov_b32 s7, 0xb5ac
	s_mov_b32 s16, 0xb9fd
	;; [unrolled: 1-line block ×3, first 2 shown]
	s_waitcnt lgkmcnt(0)
	; wave barrier
	s_mov_b32 s29, 0xb770
	s_mov_b32 s18, 0xba95
	;; [unrolled: 1-line block ×6, first 2 shown]
	s_movk_i32 s27, 0x394e
	s_movk_i32 s28, 0x3bf1
	;; [unrolled: 1-line block ×6, first 2 shown]
	v_lshrrev_b32_e32 v77, 2, v77
	s_waitcnt vmcnt(2)
	v_mul_f16_sdwa v129, v112, v4 dst_sel:DWORD dst_unused:UNUSED_PAD src0_sel:DWORD src1_sel:WORD_1
	v_mul_f16_sdwa v130, v16, v4 dst_sel:DWORD dst_unused:UNUSED_PAD src0_sel:DWORD src1_sel:WORD_1
	;; [unrolled: 1-line block ×6, first 2 shown]
	v_fma_f16 v16, v16, v4, -v129
	v_mul_f16_sdwa v132, v35, v5 dst_sel:DWORD dst_unused:UNUSED_PAD src0_sel:DWORD src1_sel:WORD_1
	v_mul_f16_sdwa v133, v114, v6 dst_sel:DWORD dst_unused:UNUSED_PAD src0_sel:DWORD src1_sel:WORD_1
	;; [unrolled: 1-line block ×3, first 2 shown]
	s_waitcnt vmcnt(1)
	v_mul_f16_sdwa v143, v124, v3 dst_sel:DWORD dst_unused:UNUSED_PAD src0_sel:DWORD src1_sel:WORD_1
	v_mul_f16_sdwa v161, v102, v0 dst_sel:DWORD dst_unused:UNUSED_PAD src0_sel:DWORD src1_sel:WORD_1
	;; [unrolled: 1-line block ×3, first 2 shown]
	v_fma_f16 v112, v112, v4, v130
	v_fma_f16 v129, v35, v5, -v131
	v_fma_f16 v131, v29, v7, -v135
	;; [unrolled: 1-line block ×3, first 2 shown]
	v_fma_f16 v18, v101, v6, v158
	v_add_f16_e32 v101, v15, v16
	v_mul_f16_sdwa v134, v36, v6 dst_sel:DWORD dst_unused:UNUSED_PAD src0_sel:DWORD src1_sel:WORD_1
	v_mul_f16_sdwa v144, v31, v3 dst_sel:DWORD dst_unused:UNUSED_PAD src0_sel:DWORD src1_sel:WORD_1
	v_fma_f16 v113, v113, v5, v132
	v_fma_f16 v130, v36, v6, -v133
	v_fma_f16 v135, v31, v3, -v143
	v_fma_f16 v31, v20, v0, -v161
	v_fma_f16 v20, v102, v0, v162
	v_add_f16_sdwa v102, v15, v112 dst_sel:DWORD dst_unused:UNUSED_PAD src0_sel:WORD_1 src1_sel:DWORD
	v_add_f16_e32 v101, v101, v129
	v_mul_f16_sdwa v137, v121, v0 dst_sel:DWORD dst_unused:UNUSED_PAD src0_sel:DWORD src1_sel:WORD_1
	v_fma_f16 v114, v114, v6, v134
	v_add_f16_e32 v102, v102, v113
	v_add_f16_e32 v101, v101, v130
	v_mul_f16_sdwa v138, v30, v0 dst_sel:DWORD dst_unused:UNUSED_PAD src0_sel:DWORD src1_sel:WORD_1
	v_mul_f16_sdwa v139, v122, v1 dst_sel:DWORD dst_unused:UNUSED_PAD src0_sel:DWORD src1_sel:WORD_1
	v_fma_f16 v115, v115, v7, v136
	v_fma_f16 v132, v30, v0, -v137
	v_add_f16_e32 v102, v102, v114
	v_add_f16_e32 v101, v101, v131
	v_mul_f16_sdwa v140, v33, v1 dst_sel:DWORD dst_unused:UNUSED_PAD src0_sel:DWORD src1_sel:WORD_1
	v_mul_f16_sdwa v141, v123, v2 dst_sel:DWORD dst_unused:UNUSED_PAD src0_sel:DWORD src1_sel:WORD_1
	v_fma_f16 v121, v121, v0, v138
	v_fma_f16 v133, v33, v1, -v139
	v_add_f16_e32 v102, v102, v115
	v_add_f16_e32 v101, v101, v132
	v_mul_f16_sdwa v142, v34, v2 dst_sel:DWORD dst_unused:UNUSED_PAD src0_sel:DWORD src1_sel:WORD_1
	v_fma_f16 v122, v122, v1, v140
	v_fma_f16 v134, v34, v2, -v141
	v_add_f16_e32 v102, v102, v121
	v_add_f16_e32 v101, v101, v133
	s_waitcnt vmcnt(0)
	v_mul_f16_sdwa v145, v125, v8 dst_sel:DWORD dst_unused:UNUSED_PAD src0_sel:DWORD src1_sel:WORD_1
	v_fma_f16 v123, v123, v2, v142
	v_add_f16_e32 v102, v102, v122
	v_add_f16_e32 v101, v101, v134
	v_mul_f16_sdwa v146, v32, v8 dst_sel:DWORD dst_unused:UNUSED_PAD src0_sel:DWORD src1_sel:WORD_1
	v_mul_f16_sdwa v147, v126, v9 dst_sel:DWORD dst_unused:UNUSED_PAD src0_sel:DWORD src1_sel:WORD_1
	v_fma_f16 v124, v124, v3, v144
	v_fma_f16 v136, v32, v8, -v145
	v_add_f16_e32 v102, v102, v123
	v_add_f16_e32 v101, v101, v135
	v_mul_f16_sdwa v148, v27, v9 dst_sel:DWORD dst_unused:UNUSED_PAD src0_sel:DWORD src1_sel:WORD_1
	v_mul_f16_sdwa v149, v127, v10 dst_sel:DWORD dst_unused:UNUSED_PAD src0_sel:DWORD src1_sel:WORD_1
	v_fma_f16 v125, v125, v8, v146
	v_fma_f16 v137, v27, v9, -v147
	v_mul_f16_sdwa v35, v107, v8 dst_sel:DWORD dst_unused:UNUSED_PAD src0_sel:DWORD src1_sel:WORD_1
	v_add_f16_e32 v102, v102, v124
	v_add_f16_e32 v101, v101, v136
	v_mul_f16_sdwa v150, v28, v10 dst_sel:DWORD dst_unused:UNUSED_PAD src0_sel:DWORD src1_sel:WORD_1
	v_mul_f16_sdwa v151, v128, v11 dst_sel:DWORD dst_unused:UNUSED_PAD src0_sel:DWORD src1_sel:WORD_1
	;; [unrolled: 1-line block ×5, first 2 shown]
	v_fma_f16 v126, v126, v9, v148
	v_fma_f16 v138, v28, v10, -v149
	v_mul_f16_sdwa v32, v103, v1 dst_sel:DWORD dst_unused:UNUSED_PAD src0_sel:DWORD src1_sel:WORD_1
	v_fma_f16 v36, v24, v8, -v35
	v_mul_f16_sdwa v35, v106, v9 dst_sel:DWORD dst_unused:UNUSED_PAD src0_sel:DWORD src1_sel:WORD_1
	v_add_f16_e32 v102, v102, v125
	v_add_f16_e32 v101, v101, v137
	v_mul_f16_sdwa v153, v95, v4 dst_sel:DWORD dst_unused:UNUSED_PAD src0_sel:DWORD src1_sel:WORD_1
	v_mul_f16_sdwa v154, v14, v4 dst_sel:DWORD dst_unused:UNUSED_PAD src0_sel:DWORD src1_sel:WORD_1
	v_fma_f16 v127, v127, v10, v150
	v_fma_f16 v108, v108, v11, -v151
	v_fma_f16 v128, v128, v11, v152
	v_fma_f16 v28, v17, v5, -v155
	;; [unrolled: 2-line block ×3, first 2 shown]
	v_mul_f16_sdwa v21, v21, v1 dst_sel:DWORD dst_unused:UNUSED_PAD src0_sel:DWORD src1_sel:WORD_1
	v_mul_f16_sdwa v33, v104, v2 dst_sel:DWORD dst_unused:UNUSED_PAD src0_sel:DWORD src1_sel:WORD_1
	v_fma_f16 v94, v25, v9, -v35
	v_mul_f16_sdwa v35, v110, v10 dst_sel:DWORD dst_unused:UNUSED_PAD src0_sel:DWORD src1_sel:WORD_1
	v_add_f16_e32 v102, v102, v126
	v_add_f16_e32 v101, v101, v138
	v_mul_f16_sdwa v159, v96, v7 dst_sel:DWORD dst_unused:UNUSED_PAD src0_sel:DWORD src1_sel:WORD_1
	v_mul_f16_sdwa v160, v19, v7 dst_sel:DWORD dst_unused:UNUSED_PAD src0_sel:DWORD src1_sel:WORD_1
	v_fma_f16 v27, v14, v4, -v153
	v_fma_f16 v14, v95, v4, v154
	v_fma_f16 v21, v103, v1, v21
	v_fma_f16 v33, v22, v2, -v33
	v_mul_f16_sdwa v22, v22, v2 dst_sel:DWORD dst_unused:UNUSED_PAD src0_sel:DWORD src1_sel:WORD_1
	v_mul_f16_sdwa v34, v105, v3 dst_sel:DWORD dst_unused:UNUSED_PAD src0_sel:DWORD src1_sel:WORD_1
	v_mul_f16_sdwa v25, v25, v9 dst_sel:DWORD dst_unused:UNUSED_PAD src0_sel:DWORD src1_sel:WORD_1
	v_fma_f16 v95, v26, v10, -v35
	v_mul_f16_sdwa v26, v26, v10 dst_sel:DWORD dst_unused:UNUSED_PAD src0_sel:DWORD src1_sel:WORD_1
	v_mul_f16_sdwa v35, v111, v11 dst_sel:DWORD dst_unused:UNUSED_PAD src0_sel:DWORD src1_sel:WORD_1
	v_add_f16_e32 v102, v102, v127
	v_add_f16_e32 v143, v101, v108
	;; [unrolled: 1-line block ×3, first 2 shown]
	v_sub_f16_e32 v16, v16, v108
	v_sub_f16_e32 v103, v112, v128
	v_fma_f16 v30, v19, v7, -v159
	v_fma_f16 v19, v96, v7, v160
	v_fma_f16 v22, v104, v2, v22
	v_fma_f16 v34, v23, v3, -v34
	v_mul_f16_sdwa v23, v23, v3 dst_sel:DWORD dst_unused:UNUSED_PAD src0_sel:DWORD src1_sel:WORD_1
	v_mul_f16_sdwa v24, v24, v8 dst_sel:DWORD dst_unused:UNUSED_PAD src0_sel:DWORD src1_sel:WORD_1
	v_fma_f16 v25, v106, v9, v25
	v_fma_f16 v26, v110, v10, v26
	v_fma_f16 v96, v109, v11, -v35
	v_mul_f16_sdwa v35, v109, v11 dst_sel:DWORD dst_unused:UNUSED_PAD src0_sel:DWORD src1_sel:WORD_1
	v_add_f16_e32 v145, v102, v128
	v_add_f16_e32 v102, v112, v128
	v_mul_f16_e32 v104, 0xb770, v103
	v_mul_f16_e32 v106, 0xb770, v16
	;; [unrolled: 1-line block ×12, first 2 shown]
	v_fma_f16 v23, v105, v3, v23
	v_fma_f16 v24, v107, v8, v24
	v_fma_f16 v35, v111, v11, v35
	v_fma_f16 v105, v101, s4, -v104
	v_fma_f16 v107, v102, s4, v106
	v_fma_f16 v104, v101, s4, v104
	v_fma_f16 v106, v102, s4, -v106
	v_fma_f16 v109, v101, s5, -v108
	v_fma_f16 v111, v102, s5, v110
	v_fma_f16 v108, v101, s5, v108
	v_fma_f16 v110, v102, s5, -v110
	;; [unrolled: 4-line block ×6, first 2 shown]
	v_add_f16_e32 v102, v113, v127
	v_sub_f16_e32 v113, v113, v127
	v_add_f16_e32 v105, v15, v105
	v_add_f16_sdwa v107, v15, v107 dst_sel:DWORD dst_unused:UNUSED_PAD src0_sel:WORD_1 src1_sel:DWORD
	v_add_f16_e32 v104, v15, v104
	v_add_f16_sdwa v106, v15, v106 dst_sel:DWORD dst_unused:UNUSED_PAD src0_sel:WORD_1 src1_sel:DWORD
	;; [unrolled: 2-line block ×12, first 2 shown]
	v_add_f16_e32 v16, v129, v138
	v_mul_f16_e32 v127, 0xba95, v113
	v_sub_f16_e32 v103, v129, v138
	v_fma_f16 v129, v16, s5, -v127
	v_add_f16_e32 v105, v129, v105
	v_mul_f16_e32 v129, 0xba95, v103
	v_fma_f16 v127, v16, s5, v127
	v_add_f16_e32 v104, v127, v104
	v_fma_f16 v127, v102, s5, -v129
	v_add_f16_e32 v106, v127, v106
	v_mul_f16_e32 v127, 0xbb7b, v113
	v_fma_f16 v138, v102, s5, v129
	v_fma_f16 v129, v16, s7, -v127
	v_add_f16_e32 v109, v129, v109
	v_mul_f16_e32 v129, 0xbb7b, v103
	v_fma_f16 v127, v16, s7, v127
	v_add_f16_e32 v108, v127, v108
	v_fma_f16 v127, v102, s7, -v129
	v_add_f16_e32 v110, v127, v110
	v_mul_f16_e32 v127, 0xb3a8, v113
	v_add_f16_e32 v107, v138, v107
	v_fma_f16 v138, v102, s7, v129
	v_fma_f16 v129, v16, s17, -v127
	v_add_f16_e32 v128, v129, v128
	v_mul_f16_e32 v129, 0xb3a8, v103
	v_fma_f16 v127, v16, s17, v127
	v_add_f16_e32 v111, v138, v111
	v_fma_f16 v138, v102, s17, v129
	v_add_f16_e32 v112, v127, v112
	v_fma_f16 v127, v102, s17, -v129
	v_mul_f16_e32 v129, 0x394e, v113
	v_add_f16_e32 v138, v138, v140
	v_add_f16_e32 v127, v127, v139
	v_fma_f16 v139, v16, s16, -v129
	v_mul_f16_e32 v140, 0x394e, v103
	v_fma_f16 v129, v16, s16, v129
	v_add_f16_e32 v139, v139, v142
	v_fma_f16 v142, v102, s16, v140
	v_add_f16_e32 v129, v129, v141
	v_fma_f16 v140, v102, s16, -v140
	v_mul_f16_e32 v141, 0x3bf1, v113
	v_add_f16_e32 v140, v140, v144
	v_fma_f16 v144, v16, s6, -v141
	v_fma_f16 v141, v16, s6, v141
	v_mul_f16_e32 v113, 0x3770, v113
	v_add_f16_e32 v142, v142, v146
	v_mul_f16_e32 v146, 0x3bf1, v103
	v_add_f16_e32 v141, v141, v147
	v_fma_f16 v147, v16, s4, -v113
	v_mul_f16_e32 v103, 0x3770, v103
	v_fma_f16 v16, v16, s4, v113
	v_add_f16_e32 v144, v144, v148
	v_fma_f16 v148, v102, s6, v146
	v_fma_f16 v146, v102, s6, -v146
	v_add_f16_e32 v16, v16, v101
	v_fma_f16 v101, v102, s4, -v103
	v_sub_f16_e32 v113, v114, v126
	v_add_f16_e32 v146, v146, v149
	v_fma_f16 v149, v102, s4, v103
	v_add_f16_e32 v15, v101, v15
	v_add_f16_e32 v101, v130, v137
	;; [unrolled: 1-line block ×3, first 2 shown]
	v_mul_f16_e32 v114, 0xbbf1, v113
	v_sub_f16_e32 v103, v130, v137
	v_fma_f16 v126, v101, s6, -v114
	v_add_f16_e32 v105, v126, v105
	v_mul_f16_e32 v126, 0xbbf1, v103
	v_fma_f16 v114, v101, s6, v114
	v_add_f16_e32 v104, v114, v104
	v_fma_f16 v114, v102, s6, -v126
	v_add_f16_e32 v106, v114, v106
	v_mul_f16_e32 v114, 0xb3a8, v113
	v_fma_f16 v130, v102, s6, v126
	v_fma_f16 v126, v101, s17, -v114
	v_add_f16_e32 v109, v126, v109
	v_mul_f16_e32 v126, 0xb3a8, v103
	v_fma_f16 v114, v101, s17, v114
	v_add_f16_e32 v108, v114, v108
	v_fma_f16 v114, v102, s17, -v126
	v_add_f16_e32 v110, v114, v110
	v_mul_f16_e32 v114, 0x3b7b, v113
	v_add_f16_e32 v107, v130, v107
	v_fma_f16 v130, v102, s17, v126
	v_fma_f16 v126, v101, s7, -v114
	v_add_f16_e32 v126, v126, v128
	v_mul_f16_e32 v128, 0x3b7b, v103
	v_fma_f16 v114, v101, s7, v114
	v_add_f16_e32 v112, v114, v112
	v_fma_f16 v114, v102, s7, -v128
	v_add_f16_e32 v114, v114, v127
	v_mul_f16_e32 v127, 0x3770, v113
	v_add_f16_e32 v111, v130, v111
	v_fma_f16 v130, v102, s7, v128
	v_fma_f16 v128, v101, s4, -v127
	v_mul_f16_e32 v137, 0x3770, v103
	v_fma_f16 v127, v101, s4, v127
	v_add_f16_e32 v130, v130, v138
	v_fma_f16 v138, v102, s4, v137
	v_add_f16_e32 v127, v127, v129
	v_fma_f16 v129, v102, s4, -v137
	v_mul_f16_e32 v137, 0xba95, v113
	v_add_f16_e32 v128, v128, v139
	v_fma_f16 v139, v101, s5, -v137
	v_fma_f16 v137, v101, s5, v137
	v_mul_f16_e32 v113, 0xb94e, v113
	v_add_f16_e32 v129, v129, v140
	v_mul_f16_e32 v140, 0xba95, v103
	v_add_f16_e32 v137, v137, v141
	v_fma_f16 v141, v101, s16, -v113
	v_mul_f16_e32 v103, 0xb94e, v103
	v_fma_f16 v101, v101, s16, v113
	v_add_f16_e32 v16, v101, v16
	v_fma_f16 v101, v102, s16, -v103
	v_sub_f16_e32 v113, v115, v125
	v_add_f16_e32 v138, v138, v142
	v_add_f16_e32 v139, v139, v144
	v_fma_f16 v142, v102, s5, v140
	v_fma_f16 v140, v102, s5, -v140
	v_fma_f16 v144, v102, s16, v103
	v_add_f16_e32 v15, v101, v15
	v_add_f16_e32 v101, v131, v136
	;; [unrolled: 1-line block ×3, first 2 shown]
	v_mul_f16_e32 v115, 0xbb7b, v113
	v_sub_f16_e32 v103, v131, v136
	v_fma_f16 v125, v101, s7, -v115
	v_add_f16_e32 v105, v125, v105
	v_mul_f16_e32 v125, 0xbb7b, v103
	v_fma_f16 v115, v101, s7, v115
	v_add_f16_e32 v104, v115, v104
	v_fma_f16 v115, v102, s7, -v125
	v_add_f16_e32 v106, v115, v106
	v_mul_f16_e32 v115, 0x394e, v113
	v_fma_f16 v131, v102, s7, v125
	v_fma_f16 v125, v101, s16, -v115
	v_add_f16_e32 v109, v125, v109
	v_mul_f16_e32 v125, 0x394e, v103
	v_fma_f16 v115, v101, s16, v115
	v_add_f16_e32 v108, v115, v108
	v_fma_f16 v115, v102, s16, -v125
	v_add_f16_e32 v110, v115, v110
	v_mul_f16_e32 v115, 0x3770, v113
	v_add_f16_e32 v107, v131, v107
	v_fma_f16 v131, v102, s16, v125
	v_fma_f16 v125, v101, s4, -v115
	v_add_f16_e32 v125, v125, v126
	v_mul_f16_e32 v126, 0x3770, v103
	v_fma_f16 v115, v101, s4, v115
	v_add_f16_e32 v112, v115, v112
	v_fma_f16 v115, v102, s4, -v126
	v_add_f16_e32 v114, v115, v114
	v_mul_f16_e32 v115, 0xbbf1, v113
	v_add_f16_e32 v111, v131, v111
	v_fma_f16 v131, v102, s4, v126
	v_fma_f16 v126, v101, s6, -v115
	v_add_f16_e32 v126, v126, v128
	v_mul_f16_e32 v128, 0xbbf1, v103
	v_fma_f16 v115, v101, s6, v115
	v_add_f16_e32 v130, v131, v130
	v_fma_f16 v131, v102, s6, v128
	v_add_f16_e32 v115, v115, v127
	v_fma_f16 v127, v102, s6, -v128
	v_mul_f16_e32 v128, 0x33a8, v113
	v_add_f16_e32 v127, v127, v129
	v_fma_f16 v129, v101, s17, -v128
	v_fma_f16 v128, v101, s17, v128
	v_mul_f16_e32 v113, 0x3a95, v113
	v_mul_f16_e32 v136, 0x33a8, v103
	v_add_f16_e32 v128, v128, v137
	v_fma_f16 v137, v101, s5, -v113
	v_mul_f16_e32 v103, 0x3a95, v103
	v_fma_f16 v101, v101, s5, v113
	v_add_f16_e32 v16, v101, v16
	v_fma_f16 v101, v102, s5, -v103
	v_sub_f16_e32 v113, v121, v124
	v_add_f16_e32 v131, v131, v138
	v_add_f16_e32 v129, v129, v139
	v_fma_f16 v138, v102, s17, v136
	v_fma_f16 v136, v102, s17, -v136
	v_fma_f16 v139, v102, s5, v103
	v_add_f16_e32 v15, v101, v15
	v_add_f16_e32 v101, v132, v135
	;; [unrolled: 1-line block ×3, first 2 shown]
	v_mul_f16_e32 v121, 0xb94e, v113
	v_sub_f16_e32 v103, v132, v135
	v_fma_f16 v124, v101, s16, -v121
	v_add_f16_e32 v105, v124, v105
	v_mul_f16_e32 v124, 0xb94e, v103
	v_fma_f16 v121, v101, s16, v121
	v_add_f16_e32 v104, v121, v104
	v_fma_f16 v121, v102, s16, -v124
	v_add_f16_e32 v106, v121, v106
	v_mul_f16_e32 v121, 0x3bf1, v113
	v_fma_f16 v132, v102, s16, v124
	v_fma_f16 v124, v101, s6, -v121
	v_add_f16_e32 v109, v124, v109
	v_mul_f16_e32 v124, 0x3bf1, v103
	v_fma_f16 v121, v101, s6, v121
	v_add_f16_e32 v108, v121, v108
	v_fma_f16 v121, v102, s6, -v124
	v_add_f16_e32 v110, v121, v110
	v_mul_f16_e32 v121, 0xba95, v113
	v_add_f16_e32 v107, v132, v107
	v_fma_f16 v132, v102, s6, v124
	v_fma_f16 v124, v101, s5, -v121
	v_add_f16_e32 v124, v124, v125
	v_mul_f16_e32 v125, 0xba95, v103
	v_fma_f16 v121, v101, s5, v121
	v_add_f16_e32 v112, v121, v112
	v_fma_f16 v121, v102, s5, -v125
	v_add_f16_e32 v114, v121, v114
	v_mul_f16_e32 v121, 0x33a8, v113
	v_add_f16_e32 v111, v132, v111
	v_fma_f16 v132, v102, s5, v125
	v_fma_f16 v125, v101, s17, -v121
	v_add_f16_e32 v125, v125, v126
	v_mul_f16_e32 v126, 0x33a8, v103
	v_fma_f16 v121, v101, s17, v121
	v_add_f16_e32 v130, v132, v130
	v_fma_f16 v132, v102, s17, v126
	v_add_f16_e32 v115, v121, v115
	v_fma_f16 v121, v102, s17, -v126
	v_mul_f16_e32 v126, 0x3770, v113
	v_add_f16_e32 v121, v121, v127
	v_fma_f16 v127, v101, s4, -v126
	v_add_f16_e32 v127, v127, v129
	v_mul_f16_e32 v129, 0x3770, v103
	v_fma_f16 v126, v101, s4, v126
	v_mul_f16_e32 v113, 0xbb7b, v113
	v_add_f16_e32 v131, v132, v131
	v_fma_f16 v132, v102, s4, v129
	v_add_f16_e32 v126, v126, v128
	v_fma_f16 v128, v102, s4, -v129
	v_fma_f16 v129, v101, s7, -v113
	v_mul_f16_e32 v103, 0xbb7b, v103
	v_fma_f16 v101, v101, s7, v113
	v_add_f16_e32 v16, v101, v16
	v_fma_f16 v101, v102, s7, -v103
	v_sub_f16_e32 v113, v122, v123
	v_fma_f16 v135, v102, s7, v103
	v_add_f16_e32 v15, v101, v15
	v_add_f16_e32 v101, v133, v134
	;; [unrolled: 1-line block ×3, first 2 shown]
	v_mul_f16_e32 v122, 0xb3a8, v113
	v_sub_f16_e32 v103, v133, v134
	v_fma_f16 v123, v101, s17, -v122
	v_add_f16_e32 v157, v123, v105
	v_mul_f16_e32 v105, 0xb3a8, v103
	v_fma_f16 v123, v102, s17, v105
	v_add_f16_e32 v158, v123, v107
	v_fma_f16 v107, v101, s17, v122
	v_add_f16_e32 v159, v107, v104
	v_fma_f16 v104, v102, s17, -v105
	v_add_f16_e32 v160, v104, v106
	v_mul_f16_e32 v104, 0x3770, v113
	v_fma_f16 v105, v101, s4, -v104
	v_add_f16_e32 v161, v105, v109
	v_mul_f16_e32 v105, 0x3770, v103
	v_fma_f16 v104, v101, s4, v104
	v_add_f16_e32 v163, v104, v108
	v_fma_f16 v104, v102, s4, -v105
	v_add_f16_e32 v164, v104, v110
	v_mul_f16_e32 v104, 0xb94e, v113
	v_fma_f16 v106, v102, s4, v105
	v_fma_f16 v105, v101, s16, -v104
	v_add_f16_e32 v165, v105, v124
	v_mul_f16_e32 v105, 0xb94e, v103
	v_fma_f16 v104, v101, s16, v104
	v_add_f16_e32 v167, v104, v112
	v_fma_f16 v104, v102, s16, -v105
	v_add_f16_e32 v168, v104, v114
	v_mul_f16_e32 v104, 0x3a95, v113
	v_add_f16_e32 v162, v106, v111
	v_fma_f16 v106, v102, s16, v105
	v_fma_f16 v105, v101, s5, -v104
	v_add_f16_e32 v169, v105, v125
	v_mul_f16_e32 v105, 0x3a95, v103
	v_fma_f16 v104, v101, s5, v104
	v_add_f16_e32 v171, v104, v115
	v_fma_f16 v104, v102, s5, -v105
	v_add_f16_e32 v172, v104, v121
	v_mul_f16_e32 v104, 0xbb7b, v113
	v_add_f16_e32 v140, v140, v146
	v_add_f16_e32 v166, v106, v130
	v_fma_f16 v106, v102, s5, v105
	v_fma_f16 v105, v101, s7, -v104
	v_add_f16_e32 v147, v147, v151
	v_add_f16_e32 v136, v136, v140
	;; [unrolled: 1-line block ×3, first 2 shown]
	v_mul_f16_e32 v105, 0xbb7b, v103
	v_fma_f16 v104, v101, s7, v104
	v_add_f16_e32 v149, v149, v152
	v_add_f16_e32 v141, v141, v147
	;; [unrolled: 1-line block ×4, first 2 shown]
	v_fma_f16 v104, v102, s7, -v105
	v_add_f16_e32 v144, v144, v149
	v_add_f16_e32 v137, v137, v141
	;; [unrolled: 1-line block ×3, first 2 shown]
	v_mul_f16_e32 v104, 0x3bf1, v113
	v_add_f16_e32 v148, v148, v150
	v_add_f16_e32 v139, v139, v144
	v_add_f16_e32 v129, v129, v137
	v_add_f16_e32 v170, v106, v131
	v_fma_f16 v106, v102, s7, v105
	v_fma_f16 v105, v101, s6, -v104
	v_mul_f16_e32 v103, 0x3bf1, v103
	v_fma_f16 v101, v101, s6, v104
	v_sub_f16_e32 v123, v27, v96
	v_add_f16_e32 v142, v142, v148
	v_add_f16_e32 v135, v135, v139
	;; [unrolled: 1-line block ×3, first 2 shown]
	v_fma_f16 v105, v102, s6, v103
	v_add_f16_e32 v179, v101, v16
	v_add_f16_e32 v147, v14, v35
	v_sub_f16_e32 v144, v14, v35
	v_mul_f16_e32 v101, 0xb770, v123
	v_add_f16_e32 v138, v138, v142
	v_add_f16_e32 v178, v105, v135
	v_fma_f16 v16, v102, s6, -v103
	v_add_f16_e32 v109, v27, v96
	v_fma_f16 v102, v147, s4, -v101
	v_mul_f16_e32 v105, 0xba95, v144
	v_add_f16_e32 v132, v132, v138
	v_add_f16_e32 v104, v93, v102
	v_mul_f16_e32 v108, 0xba95, v123
	v_fma_f16 v102, v109, s5, v105
	v_add_f16_e32 v174, v106, v132
	v_add_f16_e32 v180, v16, v15
	v_mul_f16_e32 v15, 0xb770, v144
	v_add_f16_e32 v106, v13, v102
	v_fma_f16 v102, v147, s5, -v108
	v_sub_f16_e32 v146, v17, v26
	v_fma_f16 v16, v109, s4, v15
	v_add_f16_e32 v107, v93, v102
	v_add_f16_e32 v124, v28, v95
	v_sub_f16_e32 v129, v28, v95
	v_mul_f16_e32 v102, 0xba95, v146
	v_add_f16_e32 v16, v13, v16
	v_add_f16_e32 v149, v17, v26
	v_mul_f16_e32 v103, 0xba95, v129
	v_fma_f16 v110, v124, s5, v102
	v_add_f16_e32 v16, v110, v16
	v_fma_f16 v110, v149, s5, -v103
	v_add_f16_e32 v111, v110, v104
	v_mul_f16_e32 v110, 0xbb7b, v146
	v_mul_f16_e32 v122, 0xbb7b, v129
	v_fma_f16 v104, v124, s7, v110
	v_add_f16_e32 v112, v104, v106
	v_fma_f16 v104, v149, s7, -v122
	v_sub_f16_e32 v148, v18, v25
	v_add_f16_e32 v107, v104, v107
	v_add_f16_e32 v130, v29, v94
	v_sub_f16_e32 v133, v29, v94
	v_mul_f16_e32 v104, 0xbbf1, v148
	v_add_f16_e32 v151, v18, v25
	v_mul_f16_e32 v106, 0xbbf1, v133
	v_fma_f16 v113, v130, s6, v104
	v_add_f16_e32 v16, v113, v16
	v_fma_f16 v113, v151, s6, -v106
	v_mul_f16_e32 v125, 0xb3a8, v148
	v_add_f16_e32 v113, v113, v111
	v_mul_f16_e32 v128, 0xb3a8, v133
	v_fma_f16 v111, v130, s17, v125
	v_add_f16_e32 v112, v111, v112
	v_fma_f16 v111, v151, s17, -v128
	v_sub_f16_e32 v150, v19, v24
	v_add_f16_e32 v114, v111, v107
	v_add_f16_e32 v134, v30, v36
	v_sub_f16_e32 v138, v30, v36
	v_mul_f16_e32 v107, 0xbb7b, v150
	v_add_f16_e32 v153, v19, v24
	v_mul_f16_e32 v111, 0xbb7b, v138
	v_fma_f16 v115, v134, s7, v107
	v_add_f16_e32 v16, v115, v16
	v_fma_f16 v115, v153, s7, -v111
	v_mul_f16_e32 v131, 0x394e, v150
	v_add_f16_e32 v113, v115, v113
	v_mul_f16_e32 v132, 0x394e, v138
	v_fma_f16 v115, v134, s16, v131
	v_sub_f16_e32 v152, v20, v23
	v_add_f16_e32 v112, v115, v112
	v_fma_f16 v115, v153, s16, -v132
	v_add_f16_e32 v139, v31, v34
	v_sub_f16_e32 v140, v31, v34
	v_mul_f16_e32 v121, 0xb94e, v152
	v_add_f16_e32 v114, v115, v114
	v_add_f16_e32 v155, v20, v23
	v_mul_f16_e32 v126, 0xb94e, v140
	v_fma_f16 v115, v139, s16, v121
	v_add_f16_e32 v16, v115, v16
	v_fma_f16 v115, v155, s16, -v126
	v_mul_f16_e32 v135, 0x3bf1, v152
	v_add_f16_e32 v115, v115, v113
	v_mul_f16_e32 v137, 0x3bf1, v140
	v_fma_f16 v113, v139, s6, v135
	v_sub_f16_e32 v154, v21, v22
	v_add_f16_e32 v181, v113, v112
	v_fma_f16 v112, v155, s6, -v137
	v_add_f16_e32 v141, v32, v33
	v_mul_f16_e32 v127, 0xb3a8, v154
	v_add_f16_e32 v182, v112, v114
	v_fma_f16 v112, v141, s17, v127
	v_add_f16_e32 v113, v112, v16
	v_sub_f16_e32 v142, v32, v33
	v_lshrrev_b32_e32 v112, 2, v73
	v_add_f16_e32 v156, v21, v22
	v_mul_f16_e32 v136, 0xb3a8, v142
	v_mul_u32_u24_e32 v112, 52, v112
	v_fma_f16 v16, v156, s17, -v136
	v_or_b32_e32 v112, v112, v76
	v_add_f16_e32 v114, v16, v115
	v_pack_b32_f16 v115, v157, v158
	v_lshlrev_b32_e32 v112, 2, v112
	v_pack_b32_f16 v157, v161, v162
	v_pack_b32_f16 v158, v165, v166
	ds_write2_b32 v112, v157, v158 offset0:8 offset1:12
	v_pack_b32_f16 v157, v169, v170
	v_pack_b32_f16 v158, v173, v174
	;; [unrolled: 1-line block ×3, first 2 shown]
	v_mul_f16_e32 v145, 0x3770, v142
	ds_write2_b32 v112, v157, v158 offset0:16 offset1:20
	v_pack_b32_f16 v157, v177, v178
	v_pack_b32_f16 v158, v179, v180
	ds_write2_b32 v112, v16, v115 offset1:4
	v_fma_f16 v16, v156, s4, -v145
	v_mul_f16_e32 v143, 0x3770, v154
	ds_write2_b32 v112, v157, v158 offset0:24 offset1:28
	v_pack_b32_f16 v157, v175, v176
	v_pack_b32_f16 v158, v171, v172
	v_add_f16_e32 v115, v16, v182
	v_fma_f16 v16, v141, s4, v143
	ds_write2_b32 v112, v157, v158 offset0:32 offset1:36
	v_pack_b32_f16 v157, v167, v168
	v_pack_b32_f16 v158, v163, v164
	v_add_f16_e32 v16, v16, v181
	ds_write2_b32 v112, v157, v158 offset0:40 offset1:44
	v_pack_b32_f16 v157, v159, v160
	ds_write_b32 v112, v157 offset:192
	s_and_saveexec_b64 s[0:1], vcc
	s_cbranch_execz .LBB0_5
; %bb.4:
	v_mul_f16_e32 v181, 0x2fb7, v147
	v_fma_f16 v182, v123, s28, v181
	v_mul_f16_e32 v183, 0xbbc4, v149
	v_add_f16_e32 v182, v93, v182
	v_fma_f16 v184, v129, s25, v183
	v_add_f16_e32 v182, v184, v182
	v_mul_f16_e32 v184, 0xb5ac, v151
	v_fma_f16 v185, v133, s26, v184
	v_add_f16_e32 v182, v185, v182
	v_mul_f16_e32 v185, 0x3b15, v153
	v_fma_f16 v186, v138, s29, v185
	v_add_f16_e32 v182, v186, v182
	v_mul_f16_e32 v186, 0x388b, v155
	v_fma_f16 v187, v140, s24, v186
	v_add_f16_e32 v182, v187, v182
	v_mul_f16_e32 v187, 0xb9fd, v156
	v_fma_f16 v188, v142, s27, v187
	v_add_f16_e32 v182, v188, v182
	v_mul_f16_e32 v188, 0xbbf1, v144
	v_fma_f16 v189, v109, s6, v188
	v_mul_f16_e32 v190, 0xb3a8, v146
	v_add_f16_e32 v189, v13, v189
	v_fma_f16 v191, v124, s17, v190
	v_add_f16_e32 v189, v191, v189
	v_mul_f16_e32 v191, 0x3b7b, v148
	v_fma_f16 v192, v130, s7, v191
	v_add_f16_e32 v189, v192, v189
	v_mul_f16_e32 v192, 0x3770, v150
	v_fma_f16 v193, v134, s4, v192
	v_add_f16_e32 v189, v193, v189
	v_mul_f16_e32 v193, 0xba95, v152
	v_fma_f16 v194, v139, s5, v193
	v_add_f16_e32 v189, v194, v189
	v_mul_f16_e32 v194, 0xb94e, v154
	v_fma_f16 v195, v141, s16, v194
	v_add_f16_e32 v189, v195, v189
	;; [unrolled: 18-line block ×5, first 2 shown]
	v_mul_f16_e32 v216, 0xb94e, v144
	v_fma_f16 v217, v109, s16, v216
	v_mul_f16_e32 v218, 0x3bf1, v146
	v_add_f16_e32 v217, v13, v217
	v_fma_f16 v219, v124, s6, v218
	v_add_f16_e32 v217, v219, v217
	v_mul_f16_e32 v219, 0xba95, v148
	v_fma_f16 v220, v130, s5, v219
	v_add_f16_e32 v217, v220, v217
	v_mul_f16_e32 v220, 0x33a8, v150
	;; [unrolled: 3-line block ×4, first 2 shown]
	v_mul_f16_e32 v158, 0x3b15, v147
	v_mul_f16_e32 v160, 0x388b, v147
	v_fma_f16 v223, v141, s7, v222
	v_mul_f16_e32 v147, 0xbbc4, v147
	v_mul_f16_e32 v162, 0x388b, v149
	v_mul_f16_e32 v164, 0xb5ac, v149
	v_add_f16_e32 v217, v223, v217
	v_fma_f16 v223, v123, s25, v147
	v_mul_f16_e32 v149, 0x3b15, v149
	v_mul_f16_e32 v166, 0x2fb7, v151
	v_mul_f16_e32 v168, 0xbbc4, v151
	v_add_f16_e32 v223, v93, v223
	;; [unrolled: 5-line block ×5, first 2 shown]
	v_fma_f16 v224, v140, s23, v155
	v_mul_f16_e32 v156, 0x2fb7, v156
	v_add_f16_e32 v223, v224, v223
	v_fma_f16 v224, v142, s20, v156
	v_mul_f16_e32 v144, 0xb3a8, v144
	v_add_f16_e32 v223, v224, v223
	v_fma_f16 v224, v109, s17, v144
	v_mul_f16_e32 v146, 0x3770, v146
	v_fma_f16 v144, v109, s17, -v144
	v_fma_f16 v225, v124, s4, v146
	v_mul_f16_e32 v148, 0xb94e, v148
	v_add_f16_e32 v144, v13, v144
	v_fma_f16 v146, v124, s4, -v146
	v_mul_f16_e32 v150, 0x3a95, v150
	v_add_f16_e32 v144, v146, v144
	v_fma_f16 v146, v130, s16, -v148
	;; [unrolled: 3-line block ×4, first 2 shown]
	v_add_f16_e32 v144, v146, v144
	v_fma_f16 v146, v141, s6, -v154
	v_add_f16_e32 v224, v13, v224
	v_add_f16_e32 v144, v146, v144
	v_fma_f16 v146, v123, s19, v209
	v_add_f16_e32 v224, v225, v224
	v_fma_f16 v225, v130, s16, v148
	v_fma_f16 v147, v123, s22, v147
	v_add_f16_e32 v146, v93, v146
	v_fma_f16 v148, v129, s28, v211
	v_add_f16_e32 v147, v93, v147
	;; [unrolled: 2-line block ×11, first 2 shown]
	v_fma_f16 v148, v109, s16, -v216
	v_add_f16_e32 v147, v149, v147
	v_add_f16_e32 v148, v13, v148
	v_fma_f16 v149, v124, s6, -v218
	v_add_f16_e32 v148, v149, v148
	v_fma_f16 v149, v130, s5, -v219
	;; [unrolled: 2-line block ×5, first 2 shown]
	v_add_f16_e32 v148, v149, v148
	v_fma_f16 v149, v123, s26, v195
	v_add_f16_e32 v224, v225, v224
	v_fma_f16 v225, v134, s5, v150
	v_add_f16_e32 v149, v93, v149
	v_fma_f16 v150, v129, s27, v197
	v_add_f16_e32 v149, v150, v149
	v_fma_f16 v150, v133, s21, v198
	v_add_f16_e32 v149, v150, v149
	v_fma_f16 v150, v138, s20, v199
	v_add_f16_e32 v149, v150, v149
	v_fma_f16 v150, v140, s25, v200
	v_mul_f16_e32 v157, 0x3b15, v109
	v_mul_f16_e32 v159, 0x388b, v109
	v_add_f16_e32 v149, v150, v149
	v_fma_f16 v150, v142, s24, v201
	v_add_f16_e32 v149, v150, v149
	v_fma_f16 v150, v109, s7, -v202
	v_fma_f16 v109, v109, s6, -v188
	v_sub_f16_e32 v105, v159, v105
	v_sub_f16_e32 v15, v157, v15
	v_add_f16_e32 v150, v13, v150
	v_add_f16_e32 v109, v13, v109
	;; [unrolled: 1-line block ×14, first 2 shown]
	v_mul_f16_e32 v161, 0x388b, v124
	v_add_f16_e32 v101, v101, v158
	v_add_f16_e32 v13, v13, v32
	;; [unrolled: 1-line block ×3, first 2 shown]
	v_mul_f16_e32 v163, 0xb5ac, v124
	v_mul_f16_e32 v165, 0x2fb7, v130
	v_fma_f16 v123, v123, s20, v181
	v_add_f16_e32 v108, v108, v160
	v_add_f16_e32 v101, v93, v101
	;; [unrolled: 1-line block ×3, first 2 shown]
	v_sub_f16_e32 v102, v161, v102
	v_add_f16_e32 v13, v13, v33
	v_add_f16_e32 v14, v14, v22
	v_mul_f16_e32 v167, 0xbbc4, v130
	v_mul_f16_e32 v169, 0xb5ac, v134
	v_fma_f16 v151, v124, s16, -v204
	v_add_f16_e32 v123, v93, v123
	v_fma_f16 v129, v129, s22, v183
	v_fma_f16 v124, v124, s17, -v190
	v_add_f16_e32 v108, v93, v108
	v_add_f16_e32 v122, v122, v164
	v_sub_f16_e32 v110, v163, v110
	v_add_f16_e32 v101, v103, v101
	v_add_f16_e32 v103, v106, v166
	v_add_f16_e32 v15, v102, v15
	v_sub_f16_e32 v102, v165, v104
	v_add_f16_e32 v13, v13, v34
	v_add_f16_e32 v14, v14, v23
	v_mul_f16_e32 v171, 0xb9fd, v134
	v_mul_f16_e32 v173, 0xb9fd, v139
	v_add_f16_e32 v123, v129, v123
	v_fma_f16 v129, v133, s23, v184
	v_add_f16_e32 v109, v124, v109
	v_fma_f16 v124, v130, s7, -v191
	v_add_f16_e32 v108, v122, v108
	v_add_f16_e32 v122, v128, v168
	v_add_f16_e32 v105, v110, v105
	v_sub_f16_e32 v110, v167, v125
	v_add_f16_e32 v101, v103, v101
	v_add_f16_e32 v103, v111, v170
	v_add_f16_e32 v15, v102, v15
	v_sub_f16_e32 v102, v169, v107
	v_add_f16_e32 v13, v13, v36
	v_add_f16_e32 v14, v14, v24
	v_mul_f16_e32 v175, 0x2fb7, v139
	v_mul_f16_e32 v177, 0xbbc4, v141
	v_add_f16_e32 v150, v151, v150
	v_fma_f16 v151, v130, s4, -v205
	v_add_f16_e32 v123, v129, v123
	v_fma_f16 v129, v138, s21, v185
	v_add_f16_e32 v109, v124, v109
	v_fma_f16 v124, v134, s4, -v192
	v_add_f16_e32 v108, v122, v108
	v_add_f16_e32 v122, v132, v172
	;; [unrolled: 1-line block ×3, first 2 shown]
	v_sub_f16_e32 v110, v171, v131
	v_add_f16_e32 v101, v103, v101
	v_add_f16_e32 v103, v126, v174
	;; [unrolled: 1-line block ×3, first 2 shown]
	v_sub_f16_e32 v102, v173, v121
	v_add_f16_e32 v13, v13, v94
	v_add_f16_e32 v14, v14, v25
	v_mul_f16_e32 v179, 0x3b15, v141
	v_add_f16_e32 v150, v151, v150
	v_fma_f16 v151, v134, s6, -v206
	v_add_f16_e32 v123, v129, v123
	v_fma_f16 v129, v140, s18, v186
	v_add_f16_e32 v109, v124, v109
	v_fma_f16 v124, v139, s5, -v193
	v_add_f16_e32 v108, v122, v108
	v_add_f16_e32 v122, v137, v176
	;; [unrolled: 1-line block ×3, first 2 shown]
	v_sub_f16_e32 v110, v175, v135
	v_add_f16_e32 v101, v103, v101
	v_add_f16_e32 v103, v136, v178
	;; [unrolled: 1-line block ×3, first 2 shown]
	v_sub_f16_e32 v102, v177, v127
	v_add_f16_e32 v13, v13, v95
	v_add_f16_e32 v14, v14, v26
	v_mul_u32_u24_e32 v17, 52, v77
	v_add_f16_e32 v150, v151, v150
	v_fma_f16 v151, v139, s17, -v207
	v_add_f16_e32 v123, v129, v123
	v_fma_f16 v129, v142, s19, v187
	v_add_f16_e32 v109, v124, v109
	v_fma_f16 v124, v141, s16, -v194
	v_add_f16_e32 v108, v122, v108
	v_add_f16_e32 v122, v145, v180
	;; [unrolled: 1-line block ×3, first 2 shown]
	v_sub_f16_e32 v110, v179, v143
	v_add_f16_e32 v101, v103, v101
	v_add_f16_e32 v15, v102, v15
	;; [unrolled: 1-line block ×4, first 2 shown]
	v_or_b32_e32 v17, v17, v76
	v_add_f16_e32 v224, v225, v224
	v_fma_f16 v225, v139, s7, v152
	v_add_f16_e32 v150, v151, v150
	v_fma_f16 v151, v141, s5, -v208
	v_add_f16_e32 v123, v129, v123
	v_add_f16_e32 v109, v124, v109
	;; [unrolled: 1-line block ×4, first 2 shown]
	v_lshlrev_b32_e32 v17, 2, v17
	v_pack_b32_f16 v13, v13, v14
	v_pack_b32_f16 v14, v15, v101
	v_add_f16_e32 v224, v225, v224
	v_fma_f16 v225, v141, s6, v154
	v_add_f16_e32 v150, v151, v150
	ds_write2_b32 v17, v13, v14 offset1:4
	v_pack_b32_f16 v13, v105, v108
	v_pack_b32_f16 v14, v109, v123
	v_add_f16_e32 v224, v225, v224
	ds_write2_b32 v17, v13, v14 offset0:8 offset1:12
	v_pack_b32_f16 v13, v150, v149
	v_pack_b32_f16 v14, v148, v146
	ds_write2_b32 v17, v13, v14 offset0:16 offset1:20
	v_pack_b32_f16 v13, v144, v147
	v_pack_b32_f16 v14, v224, v223
	;; [unrolled: 3-line block ×3, first 2 shown]
	s_mov_b32 s4, 0x5040100
	ds_write2_b32 v17, v13, v14 offset0:32 offset1:36
	v_pack_b32_f16 v13, v189, v182
	v_perm_b32 v14, v115, v16, s4
	ds_write2_b32 v17, v13, v14 offset0:40 offset1:44
	v_perm_b32 v13, v114, v113, s4
	ds_write_b32 v17, v13 offset:192
.LBB0_5:
	s_or_b64 exec, exec, s[0:1]
	s_movk_i32 s0, 0x4f
	v_mul_lo_u16_sdwa v23, v91, s0 dst_sel:DWORD dst_unused:UNUSED_PAD src0_sel:BYTE_0 src1_sel:DWORD
	v_lshrrev_b16_e32 v23, 12, v23
	v_mul_lo_u16_e32 v23, 52, v23
	v_sub_u16_e32 v23, v91, v23
	v_mov_b32_e32 v24, 2
	v_lshlrev_b32_sdwa v91, v24, v23 dst_sel:DWORD dst_unused:UNUSED_PAD src0_sel:DWORD src1_sel:BYTE_0
	v_mul_lo_u16_sdwa v23, v92, s0 dst_sel:DWORD dst_unused:UNUSED_PAD src0_sel:BYTE_0 src1_sel:DWORD
	v_lshrrev_b16_e32 v23, 12, v23
	v_mul_lo_u16_e32 v23, 52, v23
	s_movk_i32 s0, 0x4ec5
	v_sub_u16_e32 v23, v92, v23
	v_mul_u32_u24_sdwa v128, v119, s0 dst_sel:DWORD dst_unused:UNUSED_PAD src0_sel:WORD_0 src1_sel:DWORD
	v_lshlrev_b32_sdwa v92, v24, v23 dst_sel:DWORD dst_unused:UNUSED_PAD src0_sel:DWORD src1_sel:BYTE_0
	v_lshrrev_b32_e32 v23, 20, v128
	v_mul_lo_u16_e32 v23, 52, v23
	v_sub_u16_e32 v23, v119, v23
	v_mul_u32_u24_sdwa v129, v118, s0 dst_sel:DWORD dst_unused:UNUSED_PAD src0_sel:WORD_0 src1_sel:DWORD
	v_lshlrev_b32_e32 v93, 2, v23
	v_lshrrev_b32_e32 v23, 20, v129
	v_mul_lo_u16_e32 v23, 52, v23
	v_sub_u16_e32 v23, v118, v23
	v_mul_u32_u24_sdwa v130, v117, s0 dst_sel:DWORD dst_unused:UNUSED_PAD src0_sel:WORD_0 src1_sel:DWORD
	v_lshlrev_b32_e32 v28, 2, v73
	v_lshlrev_b32_e32 v94, 2, v23
	v_lshrrev_b32_e32 v23, 20, v130
	s_waitcnt lgkmcnt(0)
	; wave barrier
	s_waitcnt lgkmcnt(0)
	global_load_dword v101, v28, s[14:15] offset:200
	global_load_dword v102, v91, s[14:15] offset:200
	;; [unrolled: 1-line block ×5, first 2 shown]
	v_mul_lo_u16_e32 v23, 52, v23
	v_sub_u16_e32 v23, v117, v23
	v_mul_u32_u24_sdwa v131, v116, s0 dst_sel:DWORD dst_unused:UNUSED_PAD src0_sel:WORD_0 src1_sel:DWORD
	v_lshlrev_b32_e32 v95, 2, v23
	global_load_dword v106, v95, s[14:15] offset:200
	v_lshrrev_b32_e32 v23, 20, v131
	v_mul_lo_u16_e32 v23, 52, v23
	v_sub_u16_e32 v23, v116, v23
	v_lshlrev_b32_e32 v96, 2, v23
	global_load_dword v109, v96, s[14:15] offset:200
	v_mul_u32_u24_sdwa v23, v97, s0 dst_sel:DWORD dst_unused:UNUSED_PAD src0_sel:WORD_0 src1_sel:DWORD
	v_lshrrev_b32_e32 v23, 20, v23
	v_mul_lo_u16_e32 v23, 52, v23
	v_sub_u16_e32 v23, v97, v23
	v_lshlrev_b32_e32 v97, 2, v23
	v_mul_u32_u24_sdwa v23, v98, s0 dst_sel:DWORD dst_unused:UNUSED_PAD src0_sel:WORD_0 src1_sel:DWORD
	v_lshrrev_b32_e32 v23, 20, v23
	v_mul_lo_u16_e32 v23, 52, v23
	v_sub_u16_e32 v23, v98, v23
	v_lshlrev_b32_e32 v98, 2, v23
	v_mul_u32_u24_sdwa v23, v99, s0 dst_sel:DWORD dst_unused:UNUSED_PAD src0_sel:WORD_0 src1_sel:DWORD
	v_lshrrev_b32_e32 v23, 20, v23
	v_mul_lo_u16_e32 v23, 52, v23
	v_add_u32_e32 v138, 0x800, v69
	v_add_u32_e32 v15, 0xa00, v69
	v_sub_u16_e32 v23, v99, v23
	ds_read2_b32 v[13:14], v69 offset1:52
	ds_read2_b32 v[17:18], v138 offset0:112 offset1:164
	ds_read2_b32 v[19:20], v69 offset0:104 offset1:156
	;; [unrolled: 1-line block ×3, first 2 shown]
	global_load_dword v108, v97, s[14:15] offset:200
	global_load_dword v107, v98, s[14:15] offset:200
	v_lshlrev_b32_e32 v99, 2, v23
	v_mul_u32_u24_sdwa v23, v100, s0 dst_sel:DWORD dst_unused:UNUSED_PAD src0_sel:WORD_0 src1_sel:DWORD
	v_lshrrev_b32_e32 v23, 20, v23
	v_mul_lo_u16_e32 v23, 52, v23
	global_load_dword v110, v99, s[14:15] offset:200
	v_sub_u16_e32 v23, v100, v23
	v_lshlrev_b32_e32 v100, 2, v23
	global_load_dword v111, v100, s[14:15] offset:200
	s_waitcnt lgkmcnt(2)
	v_lshrrev_b32_e32 v127, 16, v17
	v_lshrrev_b32_e32 v133, 16, v18
	v_add_u32_e32 v139, 0xc00, v69
	ds_read2_b32 v[25:26], v139 offset0:64 offset1:116
	s_waitcnt lgkmcnt(1)
	v_lshrrev_b32_e32 v135, 16, v21
	v_add_u32_e32 v140, 0x200, v69
	v_lshrrev_b32_e32 v137, 16, v22
	v_add_u32_e32 v141, 0x400, v69
	ds_read2_b32 v[23:24], v140 offset0:80 offset1:132
	ds_read2_b32 v[30:31], v141 offset0:56 offset1:108
	;; [unrolled: 1-line block ×3, first 2 shown]
	s_waitcnt lgkmcnt(3)
	v_lshrrev_b32_e32 v143, 16, v25
	v_lshrrev_b32_e32 v145, 16, v26
	v_add_u32_e32 v27, 0x1000, v69
	ds_read2_b32 v[121:122], v27 offset0:16 offset1:68
	s_waitcnt lgkmcnt(1)
	v_lshrrev_b32_e32 v147, 16, v32
	v_lshrrev_b32_e32 v149, 16, v33
	ds_read2_b32 v[34:35], v141 offset0:160 offset1:212
	ds_read2_b32 v[123:124], v138 offset0:8 offset1:60
	ds_read2_b32 v[125:126], v27 offset0:120 offset1:172
	s_waitcnt lgkmcnt(3)
	v_lshrrev_b32_e32 v151, 16, v121
	v_lshrrev_b32_e32 v153, 16, v122
	;; [unrolled: 1-line block ×4, first 2 shown]
	s_waitcnt lgkmcnt(0)
	v_lshrrev_b32_e32 v155, 16, v125
	v_lshrrev_b32_e32 v157, 16, v126
	;; [unrolled: 1-line block ×5, first 2 shown]
	s_waitcnt lgkmcnt(0)
	; wave barrier
	v_lshrrev_b32_e32 v144, 16, v24
	v_lshrrev_b32_e32 v146, 16, v30
	v_lshrrev_b32_e32 v148, 16, v31
	v_lshrrev_b32_e32 v150, 16, v34
	v_lshrrev_b32_e32 v152, 16, v35
	v_lshrrev_b32_e32 v154, 16, v123
	v_lshrrev_b32_e32 v156, 16, v124
	s_waitcnt vmcnt(10)
	v_mul_f16_sdwa v158, v127, v101 dst_sel:DWORD dst_unused:UNUSED_PAD src0_sel:DWORD src1_sel:WORD_1
	v_fma_f16 v158, v17, v101, -v158
	v_mul_f16_sdwa v17, v17, v101 dst_sel:DWORD dst_unused:UNUSED_PAD src0_sel:DWORD src1_sel:WORD_1
	v_fma_f16 v17, v127, v101, v17
	v_mul_f16_sdwa v127, v133, v101 dst_sel:DWORD dst_unused:UNUSED_PAD src0_sel:DWORD src1_sel:WORD_1
	v_fma_f16 v127, v18, v101, -v127
	v_mul_f16_sdwa v18, v18, v101 dst_sel:DWORD dst_unused:UNUSED_PAD src0_sel:DWORD src1_sel:WORD_1
	v_fma_f16 v18, v133, v101, v18
	s_waitcnt vmcnt(9)
	v_mul_f16_sdwa v133, v135, v102 dst_sel:DWORD dst_unused:UNUSED_PAD src0_sel:DWORD src1_sel:WORD_1
	v_fma_f16 v133, v21, v102, -v133
	v_mul_f16_sdwa v21, v21, v102 dst_sel:DWORD dst_unused:UNUSED_PAD src0_sel:DWORD src1_sel:WORD_1
	v_fma_f16 v21, v135, v102, v21
	s_waitcnt vmcnt(8)
	;; [unrolled: 5-line block ×6, first 2 shown]
	v_mul_f16_sdwa v147, v149, v109 dst_sel:DWORD dst_unused:UNUSED_PAD src0_sel:DWORD src1_sel:WORD_1
	v_fma_f16 v147, v33, v109, -v147
	v_mul_f16_sdwa v33, v33, v109 dst_sel:DWORD dst_unused:UNUSED_PAD src0_sel:DWORD src1_sel:WORD_1
	v_fma_f16 v33, v149, v109, v33
	v_sub_f16_e32 v17, v36, v17
	v_fma_f16 v36, v36, 2.0, -v17
	s_waitcnt vmcnt(3)
	v_mul_f16_sdwa v149, v151, v108 dst_sel:DWORD dst_unused:UNUSED_PAD src0_sel:DWORD src1_sel:WORD_1
	v_fma_f16 v149, v121, v108, -v149
	v_mul_f16_sdwa v121, v121, v108 dst_sel:DWORD dst_unused:UNUSED_PAD src0_sel:DWORD src1_sel:WORD_1
	v_fma_f16 v121, v151, v108, v121
	s_waitcnt vmcnt(2)
	v_mul_f16_sdwa v151, v153, v107 dst_sel:DWORD dst_unused:UNUSED_PAD src0_sel:DWORD src1_sel:WORD_1
	v_fma_f16 v151, v122, v107, -v151
	v_mul_f16_sdwa v122, v122, v107 dst_sel:DWORD dst_unused:UNUSED_PAD src0_sel:DWORD src1_sel:WORD_1
	v_fma_f16 v122, v153, v107, v122
	;; [unrolled: 5-line block ×4, first 2 shown]
	v_sub_f16_e32 v157, v13, v158
	v_fma_f16 v13, v13, 2.0, -v157
	v_sub_f16_e32 v127, v14, v127
	v_sub_f16_e32 v18, v132, v18
	v_fma_f16 v14, v14, 2.0, -v127
	v_fma_f16 v132, v132, 2.0, -v18
	v_sub_f16_e32 v133, v19, v133
	v_sub_f16_e32 v21, v134, v21
	v_pack_b32_f16 v13, v13, v36
	v_pack_b32_f16 v17, v157, v17
	v_fma_f16 v19, v19, 2.0, -v133
	v_fma_f16 v134, v134, 2.0, -v21
	v_sub_f16_e32 v135, v20, v135
	v_sub_f16_e32 v22, v136, v22
	ds_write2_b32 v69, v13, v17 offset1:52
	v_pack_b32_f16 v13, v14, v132
	v_pack_b32_f16 v14, v127, v18
	v_fma_f16 v20, v20, 2.0, -v135
	v_fma_f16 v136, v136, 2.0, -v22
	v_sub_f16_e32 v137, v23, v137
	v_sub_f16_e32 v25, v142, v25
	ds_write2_b32 v69, v13, v14 offset0:104 offset1:156
	v_pack_b32_f16 v13, v19, v134
	v_pack_b32_f16 v14, v133, v21
	v_add_u32_e32 v17, 0x200, v91
	v_fma_f16 v23, v23, 2.0, -v137
	v_fma_f16 v142, v142, 2.0, -v25
	v_sub_f16_e32 v143, v24, v143
	v_sub_f16_e32 v26, v144, v26
	ds_write2_b32 v17, v13, v14 offset0:80 offset1:132
	v_pack_b32_f16 v13, v20, v136
	v_pack_b32_f16 v14, v135, v22
	v_add_u32_e32 v17, 0x400, v92
	;; [unrolled: 8-line block ×8, first 2 shown]
	v_fma_f16 v124, v124, 2.0, -v155
	v_fma_f16 v156, v156, 2.0, -v126
	ds_write2_b32 v17, v13, v14 offset0:168 offset1:220
	v_pack_b32_f16 v13, v123, v154
	v_pack_b32_f16 v14, v153, v125
	v_add_u32_e32 v17, 0x1000, v99
	ds_write2_b32 v17, v13, v14 offset0:16 offset1:68
	v_pack_b32_f16 v13, v124, v156
	v_pack_b32_f16 v14, v155, v126
	v_add_u32_e32 v17, 0x1000, v100
	ds_write2_b32 v17, v13, v14 offset0:120 offset1:172
	v_lshrrev_b32_e32 v17, 21, v128
	v_mul_lo_u16_e32 v17, 0x68, v17
	v_sub_u16_e32 v36, v119, v17
	v_lshlrev_b16_e32 v17, 3, v36
	v_lshlrev_b32_e32 v13, 2, v120
	v_add_co_u32_e64 v23, s[0:1], s14, v17
	v_lshrrev_b32_e32 v17, 21, v129
	s_waitcnt lgkmcnt(0)
	; wave barrier
	s_waitcnt lgkmcnt(0)
	global_load_dwordx2 v[13:14], v13, s[14:15] offset:408
	v_mul_lo_u16_e32 v17, 0x68, v17
	v_mov_b32_e32 v29, s15
	v_sub_u16_e32 v134, v118, v17
	v_addc_co_u32_e64 v24, s[0:1], 0, v29, s[0:1]
	v_lshlrev_b16_e32 v17, 3, v134
	v_add_co_u32_e64 v25, s[0:1], s14, v17
	v_addc_co_u32_e64 v26, s[0:1], 0, v29, s[0:1]
	global_load_dwordx2 v[19:20], v[23:24], off offset:408
	global_load_dwordx2 v[17:18], v[25:26], off offset:408
	global_load_dwordx2 v[21:22], v39, s[14:15] offset:408
	v_lshrrev_b32_e32 v23, 21, v130
	v_mul_lo_u16_e32 v23, 0x68, v23
	v_sub_u16_e32 v146, v117, v23
	v_lshlrev_b16_e32 v23, 3, v146
	v_add_co_u32_e64 v23, s[0:1], s14, v23
	v_lshrrev_b32_e32 v25, 21, v131
	v_addc_co_u32_e64 v24, s[0:1], 0, v29, s[0:1]
	v_mul_lo_u16_e32 v25, 0x68, v25
	ds_read2_b32 v[30:31], v69 offset1:52
	ds_read2_b32 v[32:33], v141 offset0:160 offset1:212
	ds_read2_b32 v[34:35], v139 offset0:64 offset1:116
	;; [unrolled: 1-line block ×5, first 2 shown]
	global_load_dwordx2 v[23:24], v[23:24], off offset:408
	v_sub_u16_e32 v147, v116, v25
	v_lshlrev_b16_e32 v25, 3, v147
	v_add_co_u32_e64 v25, s[0:1], s14, v25
	v_addc_co_u32_e64 v26, s[0:1], 0, v29, s[0:1]
	global_load_dwordx2 v[25:26], v[25:26], off offset:408
	s_waitcnt lgkmcnt(4)
	v_lshrrev_b32_e32 v136, 16, v32
	s_waitcnt lgkmcnt(3)
	v_lshrrev_b32_e32 v137, 16, v34
	v_lshrrev_b32_e32 v143, 16, v33
	;; [unrolled: 1-line block ×3, first 2 shown]
	s_waitcnt lgkmcnt(1)
	v_lshrrev_b32_e32 v148, 16, v120
	s_waitcnt lgkmcnt(0)
	v_lshrrev_b32_e32 v149, 16, v122
	ds_read2_b32 v[116:117], v140 offset0:80 offset1:132
	ds_read2_b32 v[124:125], v138 offset0:112 offset1:164
	;; [unrolled: 1-line block ×3, first 2 shown]
	v_lshrrev_b32_e32 v151, 16, v121
	v_lshrrev_b32_e32 v152, 16, v123
	ds_read2_b32 v[128:129], v141 offset0:56 offset1:108
	ds_read2_b32 v[130:131], v15 offset0:88 offset1:140
	;; [unrolled: 1-line block ×3, first 2 shown]
	s_waitcnt lgkmcnt(4)
	v_lshrrev_b32_e32 v154, 16, v124
	s_waitcnt lgkmcnt(3)
	v_lshrrev_b32_e32 v155, 16, v126
	v_lshrrev_b32_e32 v157, 16, v125
	v_lshrrev_b32_e32 v158, 16, v127
	s_waitcnt lgkmcnt(1)
	v_lshrrev_b32_e32 v160, 16, v130
	s_waitcnt lgkmcnt(0)
	v_lshrrev_b32_e32 v161, 16, v132
	v_lshrrev_b32_e32 v163, 16, v131
	;; [unrolled: 1-line block ×4, first 2 shown]
	s_movk_i32 s0, 0x3aee
	s_mov_b32 s1, 0xbaee
	v_lshrrev_b32_e32 v142, 16, v31
	v_lshrrev_b32_e32 v145, 16, v118
	;; [unrolled: 1-line block ×7, first 2 shown]
	s_waitcnt lgkmcnt(0)
	; wave barrier
	s_movk_i32 s4, 0x1000
	s_waitcnt vmcnt(5)
	v_mul_f16_sdwa v165, v136, v13 dst_sel:DWORD dst_unused:UNUSED_PAD src0_sel:DWORD src1_sel:WORD_1
	v_fma_f16 v165, v32, v13, -v165
	v_mul_f16_sdwa v32, v32, v13 dst_sel:DWORD dst_unused:UNUSED_PAD src0_sel:DWORD src1_sel:WORD_1
	v_fma_f16 v32, v136, v13, v32
	v_mul_f16_sdwa v136, v137, v14 dst_sel:DWORD dst_unused:UNUSED_PAD src0_sel:DWORD src1_sel:WORD_1
	v_fma_f16 v136, v34, v14, -v136
	v_mul_f16_sdwa v34, v34, v14 dst_sel:DWORD dst_unused:UNUSED_PAD src0_sel:DWORD src1_sel:WORD_1
	v_fma_f16 v34, v137, v14, v34
	v_add_f16_e32 v166, v165, v136
	s_waitcnt vmcnt(2)
	v_mul_f16_sdwa v137, v143, v21 dst_sel:DWORD dst_unused:UNUSED_PAD src0_sel:DWORD src1_sel:WORD_1
	v_fma_f16 v137, v33, v21, -v137
	v_mul_f16_sdwa v33, v33, v21 dst_sel:DWORD dst_unused:UNUSED_PAD src0_sel:DWORD src1_sel:WORD_1
	v_fma_f16 v33, v143, v21, v33
	v_mul_f16_sdwa v143, v144, v22 dst_sel:DWORD dst_unused:UNUSED_PAD src0_sel:DWORD src1_sel:WORD_1
	v_fma_f16 v143, v35, v22, -v143
	v_mul_f16_sdwa v35, v35, v22 dst_sel:DWORD dst_unused:UNUSED_PAD src0_sel:DWORD src1_sel:WORD_1
	v_fma_f16 v35, v144, v22, v35
	;; [unrolled: 4-line block ×10, first 2 shown]
	s_waitcnt vmcnt(1)
	v_mul_f16_sdwa v158, v160, v23 dst_sel:DWORD dst_unused:UNUSED_PAD src0_sel:DWORD src1_sel:WORD_1
	v_fma_f16 v158, v130, v23, -v158
	v_mul_f16_sdwa v130, v130, v23 dst_sel:DWORD dst_unused:UNUSED_PAD src0_sel:DWORD src1_sel:WORD_1
	v_fma_f16 v130, v160, v23, v130
	v_mul_f16_sdwa v160, v161, v24 dst_sel:DWORD dst_unused:UNUSED_PAD src0_sel:DWORD src1_sel:WORD_1
	v_fma_f16 v160, v132, v24, -v160
	v_mul_f16_sdwa v132, v132, v24 dst_sel:DWORD dst_unused:UNUSED_PAD src0_sel:DWORD src1_sel:WORD_1
	v_fma_f16 v132, v161, v24, v132
	s_waitcnt vmcnt(0)
	v_mul_f16_sdwa v161, v163, v25 dst_sel:DWORD dst_unused:UNUSED_PAD src0_sel:DWORD src1_sel:WORD_1
	v_fma_f16 v161, v131, v25, -v161
	v_mul_f16_sdwa v131, v131, v25 dst_sel:DWORD dst_unused:UNUSED_PAD src0_sel:DWORD src1_sel:WORD_1
	v_fma_f16 v131, v163, v25, v131
	v_mul_f16_sdwa v163, v164, v26 dst_sel:DWORD dst_unused:UNUSED_PAD src0_sel:DWORD src1_sel:WORD_1
	v_fma_f16 v163, v133, v26, -v163
	v_mul_f16_sdwa v133, v133, v26 dst_sel:DWORD dst_unused:UNUSED_PAD src0_sel:DWORD src1_sel:WORD_1
	v_fma_f16 v133, v164, v26, v133
	v_add_f16_e32 v164, v30, v165
	v_fma_f16 v30, v166, -0.5, v30
	v_sub_f16_e32 v166, v32, v34
	v_fma_f16 v167, v166, s0, v30
	v_fma_f16 v30, v166, s1, v30
	v_add_f16_e32 v166, v135, v32
	v_add_f16_e32 v32, v32, v34
	;; [unrolled: 1-line block ×4, first 2 shown]
	v_fma_f16 v32, v32, -0.5, v135
	v_sub_f16_e32 v34, v165, v136
	v_add_f16_e32 v136, v137, v143
	v_fma_f16 v135, v34, s1, v32
	v_fma_f16 v32, v34, s0, v32
	v_add_f16_e32 v34, v31, v137
	v_fma_f16 v31, v136, -0.5, v31
	v_sub_f16_e32 v136, v33, v35
	v_fma_f16 v165, v136, s0, v31
	v_fma_f16 v31, v136, s1, v31
	v_add_f16_e32 v136, v142, v33
	v_add_f16_e32 v33, v33, v35
	v_add_f16_e32 v136, v136, v35
	v_fma_f16 v33, v33, -0.5, v142
	v_sub_f16_e32 v35, v137, v143
	v_add_f16_e32 v142, v144, v148
	v_fma_f16 v137, v35, s1, v33
	v_fma_f16 v33, v35, s0, v33
	v_add_f16_e32 v35, v118, v144
	v_fma_f16 v118, v142, -0.5, v118
	v_sub_f16_e32 v142, v120, v122
	v_add_f16_e32 v34, v34, v143
	v_fma_f16 v143, v142, s0, v118
	v_fma_f16 v118, v142, s1, v118
	v_add_f16_e32 v142, v145, v120
	v_add_f16_e32 v120, v120, v122
	v_add_f16_e32 v142, v142, v122
	v_fma_f16 v120, v120, -0.5, v145
	v_sub_f16_e32 v122, v144, v148
	v_add_f16_e32 v145, v149, v151
	v_fma_f16 v144, v122, s1, v120
	v_fma_f16 v120, v122, s0, v120
	v_add_f16_e32 v122, v119, v149
	v_fma_f16 v119, v145, -0.5, v119
	v_sub_f16_e32 v145, v121, v123
	v_add_f16_e32 v35, v35, v148
	;; [unrolled: 14-line block ×6, first 2 shown]
	v_fma_f16 v160, v159, s0, v129
	v_fma_f16 v129, v159, s1, v129
	v_add_f16_e32 v159, v162, v131
	v_add_f16_e32 v131, v131, v133
	;; [unrolled: 1-line block ×3, first 2 shown]
	v_fma_f16 v131, v131, -0.5, v162
	v_sub_f16_e32 v133, v161, v163
	v_pack_b32_f16 v30, v30, v32
	v_fma_f16 v161, v133, s1, v131
	v_fma_f16 v131, v133, s0, v131
	v_pack_b32_f16 v133, v164, v166
	v_pack_b32_f16 v135, v167, v135
	ds_write_b32 v69, v30 offset:832
	v_pack_b32_f16 v30, v34, v136
	ds_write_b32 v69, v135 offset:416
	ds_write2_b32 v69, v133, v30 offset1:52
	v_pack_b32_f16 v30, v165, v137
	ds_write_b32 v69, v30 offset:624
	v_pack_b32_f16 v30, v31, v33
	v_pack_b32_f16 v31, v35, v142
	ds_write2_b32 v141, v30, v31 offset0:4 offset1:56
	v_pack_b32_f16 v30, v143, v144
	v_pack_b32_f16 v32, v122, v145
	;; [unrolled: 1-line block ×3, first 2 shown]
	ds_write2_b32 v141, v32, v30 offset0:108 offset1:160
	v_pack_b32_f16 v30, v148, v149
	v_add_u32_e32 v142, 0x600, v69
	ds_write2_b32 v142, v30, v31 offset0:84 offset1:136
	v_pack_b32_f16 v30, v119, v121
	v_lshlrev_b32_e32 v122, 2, v36
	ds_write_b32 v69, v30 offset:2288
	v_pack_b32_f16 v30, v123, v150
	v_pack_b32_f16 v31, v151, v152
	v_add_u32_e32 v32, 0x800, v122
	ds_write2_b32 v32, v30, v31 offset0:112 offset1:216
	v_pack_b32_f16 v30, v116, v124
	v_lshlrev_b32_e32 v123, 2, v134
	ds_write_b32 v122, v30 offset:3328
	v_pack_b32_f16 v30, v126, v153
	;; [unrolled: 7-line block ×3, first 2 shown]
	v_pack_b32_f16 v31, v157, v158
	v_add_u32_e32 v32, 0xe00, v124
	v_add_f16_e32 v132, v132, v163
	ds_write2_b32 v32, v30, v31 offset0:40 offset1:144
	v_pack_b32_f16 v30, v128, v130
	v_lshlrev_b32_e32 v125, 2, v147
	ds_write_b32 v124, v30 offset:4576
	v_pack_b32_f16 v30, v132, v159
	v_pack_b32_f16 v31, v160, v161
	v_add_u32_e32 v32, 0xe00, v125
	ds_write2_b32 v32, v30, v31 offset0:40 offset1:144
	v_pack_b32_f16 v30, v129, v131
	ds_write_b32 v125, v30 offset:4576
	s_waitcnt lgkmcnt(0)
	; wave barrier
	s_waitcnt lgkmcnt(0)
	global_load_dword v116, v28, s[14:15] offset:1240
	global_load_dword v117, v28, s[14:15] offset:1448
	;; [unrolled: 1-line block ×6, first 2 shown]
	ds_read2_b32 v[30:31], v69 offset1:52
	ds_read2_b32 v[32:33], v138 offset0:112 offset1:164
	ds_read2_b32 v[126:127], v15 offset0:88 offset1:140
	;; [unrolled: 1-line block ×5, first 2 shown]
	s_waitcnt lgkmcnt(4)
	v_lshrrev_b32_e32 v149, 16, v32
	v_lshrrev_b32_e32 v151, 16, v33
	s_waitcnt lgkmcnt(3)
	v_lshrrev_b32_e32 v153, 16, v126
	v_lshrrev_b32_e32 v155, 16, v127
	;; [unrolled: 3-line block ×4, first 2 shown]
	ds_read2_b32 v[34:35], v69 offset0:104 offset1:156
	ds_read2_b32 v[128:129], v140 offset0:80 offset1:132
	;; [unrolled: 1-line block ×6, first 2 shown]
	s_waitcnt lgkmcnt(6)
	v_lshrrev_b32_e32 v165, 16, v143
	v_lshrrev_b32_e32 v167, 16, v144
	;; [unrolled: 1-line block ×4, first 2 shown]
	s_waitcnt lgkmcnt(0)
	v_lshrrev_b32_e32 v169, 16, v147
	v_lshrrev_b32_e32 v171, 16, v148
	;; [unrolled: 1-line block ×6, first 2 shown]
	s_waitcnt lgkmcnt(0)
	; wave barrier
	v_lshrrev_b32_e32 v160, 16, v132
	v_lshrrev_b32_e32 v162, 16, v133
	;; [unrolled: 1-line block ×6, first 2 shown]
	s_waitcnt vmcnt(5)
	v_mul_f16_sdwa v172, v149, v116 dst_sel:DWORD dst_unused:UNUSED_PAD src0_sel:DWORD src1_sel:WORD_1
	v_fma_f16 v172, v32, v116, -v172
	v_mul_f16_sdwa v32, v32, v116 dst_sel:DWORD dst_unused:UNUSED_PAD src0_sel:DWORD src1_sel:WORD_1
	v_fma_f16 v32, v149, v116, v32
	s_waitcnt vmcnt(4)
	v_mul_f16_sdwa v149, v151, v117 dst_sel:DWORD dst_unused:UNUSED_PAD src0_sel:DWORD src1_sel:WORD_1
	v_fma_f16 v149, v33, v117, -v149
	v_mul_f16_sdwa v33, v33, v117 dst_sel:DWORD dst_unused:UNUSED_PAD src0_sel:DWORD src1_sel:WORD_1
	v_fma_f16 v33, v151, v117, v33
	;; [unrolled: 5-line block ×6, first 2 shown]
	v_mul_f16_sdwa v159, v161, v116 dst_sel:DWORD dst_unused:UNUSED_PAD src0_sel:DWORD src1_sel:WORD_1
	v_fma_f16 v159, v134, v116, -v159
	v_mul_f16_sdwa v134, v134, v116 dst_sel:DWORD dst_unused:UNUSED_PAD src0_sel:DWORD src1_sel:WORD_1
	v_fma_f16 v134, v161, v116, v134
	v_mul_f16_sdwa v161, v163, v117 dst_sel:DWORD dst_unused:UNUSED_PAD src0_sel:DWORD src1_sel:WORD_1
	v_fma_f16 v161, v135, v117, -v161
	v_mul_f16_sdwa v135, v135, v117 dst_sel:DWORD dst_unused:UNUSED_PAD src0_sel:DWORD src1_sel:WORD_1
	v_fma_f16 v135, v163, v117, v135
	;; [unrolled: 4-line block ×6, first 2 shown]
	v_sub_f16_e32 v171, v30, v172
	v_sub_f16_e32 v32, v36, v32
	;; [unrolled: 1-line block ×4, first 2 shown]
	v_fma_f16 v30, v30, 2.0, -v171
	v_fma_f16 v36, v36, 2.0, -v32
	;; [unrolled: 1-line block ×4, first 2 shown]
	v_sub_f16_e32 v151, v34, v151
	v_sub_f16_e32 v126, v152, v126
	;; [unrolled: 1-line block ×4, first 2 shown]
	v_pack_b32_f16 v30, v30, v36
	v_pack_b32_f16 v32, v171, v32
	;; [unrolled: 1-line block ×3, first 2 shown]
	v_fma_f16 v34, v34, 2.0, -v151
	v_fma_f16 v152, v152, 2.0, -v126
	v_fma_f16 v35, v35, 2.0, -v153
	v_fma_f16 v154, v154, 2.0, -v127
	ds_write_b32 v69, v32 offset:1248
	ds_write2_b32 v69, v30, v31 offset1:52
	v_pack_b32_f16 v30, v149, v33
	v_pack_b32_f16 v32, v151, v126
	v_sub_f16_e32 v155, v128, v155
	v_sub_f16_e32 v130, v156, v130
	;; [unrolled: 1-line block ×4, first 2 shown]
	v_pack_b32_f16 v31, v34, v152
	ds_write2_b32 v141, v30, v32 offset0:108 offset1:160
	v_pack_b32_f16 v30, v35, v154
	v_fma_f16 v128, v128, 2.0, -v155
	v_fma_f16 v156, v156, 2.0, -v130
	;; [unrolled: 1-line block ×4, first 2 shown]
	v_sub_f16_e32 v159, v132, v159
	v_sub_f16_e32 v134, v160, v134
	ds_write2_b32 v69, v31, v30 offset0:104 offset1:156
	v_pack_b32_f16 v30, v153, v127
	v_pack_b32_f16 v32, v155, v130
	v_fma_f16 v132, v132, 2.0, -v159
	v_fma_f16 v160, v160, 2.0, -v134
	v_sub_f16_e32 v161, v133, v161
	v_sub_f16_e32 v135, v162, v135
	;; [unrolled: 1-line block ×4, first 2 shown]
	v_pack_b32_f16 v31, v128, v156
	ds_write2_b32 v142, v30, v32 offset0:84 offset1:136
	v_pack_b32_f16 v30, v129, v158
	v_fma_f16 v133, v133, 2.0, -v161
	v_fma_f16 v162, v162, 2.0, -v135
	;; [unrolled: 1-line block ×4, first 2 shown]
	ds_write2_b32 v140, v31, v30 offset0:80 offset1:132
	v_pack_b32_f16 v30, v157, v131
	v_pack_b32_f16 v31, v132, v160
	v_sub_f16_e32 v165, v137, v165
	v_sub_f16_e32 v144, v166, v144
	v_sub_f16_e32 v167, v145, v167
	v_sub_f16_e32 v147, v168, v147
	ds_write2_b32 v138, v30, v31 offset0:60 offset1:112
	v_pack_b32_f16 v31, v133, v162
	v_pack_b32_f16 v33, v136, v164
	v_fma_f16 v137, v137, 2.0, -v165
	v_fma_f16 v166, v166, 2.0, -v144
	;; [unrolled: 1-line block ×4, first 2 shown]
	v_pack_b32_f16 v32, v161, v135
	ds_write2_b32 v138, v31, v33 offset0:164 offset1:216
	v_pack_b32_f16 v31, v163, v143
	v_add_u32_e32 v143, 0xe00, v69
	v_sub_f16_e32 v169, v146, v169
	v_sub_f16_e32 v148, v170, v148
	ds_write2_b32 v143, v32, v31 offset0:92 offset1:144
	v_pack_b32_f16 v31, v137, v166
	v_pack_b32_f16 v33, v145, v168
	v_fma_f16 v146, v146, 2.0, -v169
	v_fma_f16 v170, v170, 2.0, -v148
	v_pack_b32_f16 v32, v165, v144
	ds_write2_b32 v139, v31, v33 offset0:12 offset1:64
	v_pack_b32_f16 v31, v167, v147
	v_pack_b32_f16 v30, v159, v134
	ds_write2_b32 v27, v32, v31 offset0:68 offset1:120
	v_pack_b32_f16 v31, v146, v170
	ds_write2_b32 v139, v31, v30 offset0:116 offset1:168
	v_pack_b32_f16 v30, v169, v148
	ds_write_b32 v69, v30 offset:4784
	s_waitcnt lgkmcnt(0)
	; wave barrier
	s_waitcnt lgkmcnt(0)
	global_load_dword v126, v28, s[14:15] offset:2488
	global_load_dword v127, v28, s[14:15] offset:2696
	;; [unrolled: 1-line block ×8, first 2 shown]
	v_add_co_u32_e64 v30, s[0:1], s14, v28
	v_addc_co_u32_e64 v31, s[0:1], 0, v29, s[0:1]
	v_add_co_u32_e64 v29, s[0:1], s4, v30
	v_addc_co_u32_e64 v30, s[0:1], 0, v31, s[0:1]
	global_load_dword v134, v[29:30], off offset:56
	global_load_dword v135, v[29:30], off offset:264
	ds_read2_b32 v[31:32], v69 offset1:52
	ds_read2_b32 v[33:34], v138 offset0:112 offset1:164
	global_load_dword v136, v[29:30], off offset:472
	global_load_dword v137, v[29:30], off offset:680
	v_mov_b32_e32 v35, s13
	v_add_co_u32_e64 v160, s[0:1], s12, v28
	v_addc_co_u32_e64 v161, s[0:1], 0, v35, s[0:1]
	ds_read2_b32 v[35:36], v15 offset0:88 offset1:140
	s_waitcnt lgkmcnt(1)
	v_lshrrev_b32_e32 v162, 16, v33
	v_lshrrev_b32_e32 v164, 16, v34
	ds_read2_b32 v[146:147], v139 offset0:64 offset1:116
	ds_read2_b32 v[150:151], v139 offset0:168 offset1:220
	s_waitcnt lgkmcnt(2)
	v_lshrrev_b32_e32 v166, 16, v35
	v_lshrrev_b32_e32 v168, 16, v36
	ds_read2_b32 v[154:155], v27 offset0:16 offset1:68
	s_waitcnt lgkmcnt(2)
	v_lshrrev_b32_e32 v170, 16, v146
	v_lshrrev_b32_e32 v172, 16, v147
	s_waitcnt lgkmcnt(1)
	v_lshrrev_b32_e32 v174, 16, v150
	v_lshrrev_b32_e32 v176, 16, v151
	ds_read2_b32 v[28:29], v69 offset0:104 offset1:156
	ds_read2_b32 v[144:145], v140 offset0:80 offset1:132
	;; [unrolled: 1-line block ×6, first 2 shown]
	s_waitcnt lgkmcnt(6)
	v_lshrrev_b32_e32 v178, 16, v154
	v_lshrrev_b32_e32 v180, 16, v155
	;; [unrolled: 1-line block ×4, first 2 shown]
	s_waitcnt lgkmcnt(0)
	v_lshrrev_b32_e32 v182, 16, v158
	v_lshrrev_b32_e32 v184, 16, v159
	;; [unrolled: 1-line block ×12, first 2 shown]
	s_waitcnt vmcnt(11)
	v_mul_f16_sdwa v185, v162, v126 dst_sel:DWORD dst_unused:UNUSED_PAD src0_sel:DWORD src1_sel:WORD_1
	v_fma_f16 v185, v33, v126, -v185
	v_mul_f16_sdwa v33, v33, v126 dst_sel:DWORD dst_unused:UNUSED_PAD src0_sel:DWORD src1_sel:WORD_1
	v_fma_f16 v33, v162, v126, v33
	s_waitcnt vmcnt(10)
	v_mul_f16_sdwa v162, v164, v127 dst_sel:DWORD dst_unused:UNUSED_PAD src0_sel:DWORD src1_sel:WORD_1
	v_fma_f16 v162, v34, v127, -v162
	v_mul_f16_sdwa v34, v34, v127 dst_sel:DWORD dst_unused:UNUSED_PAD src0_sel:DWORD src1_sel:WORD_1
	v_fma_f16 v34, v164, v127, v34
	;; [unrolled: 5-line block ×12, first 2 shown]
	v_sub_f16_e32 v184, v31, v185
	v_sub_f16_e32 v33, v30, v33
	v_fma_f16 v31, v31, 2.0, -v184
	v_fma_f16 v30, v30, 2.0, -v33
	v_sub_f16_e32 v162, v32, v162
	v_sub_f16_e32 v34, v163, v34
	v_fma_f16 v32, v32, 2.0, -v162
	v_fma_f16 v163, v163, 2.0, -v34
	v_sub_f16_e32 v164, v28, v164
	v_sub_f16_e32 v35, v165, v35
	;; [unrolled: 1-line block ×4, first 2 shown]
	v_pack_b32_f16 v30, v31, v30
	v_pack_b32_f16 v31, v184, v33
	v_fma_f16 v28, v28, 2.0, -v164
	v_fma_f16 v165, v165, 2.0, -v35
	;; [unrolled: 1-line block ×4, first 2 shown]
	ds_write_b32 v69, v31 offset:2496
	v_pack_b32_f16 v31, v32, v163
	v_sub_f16_e32 v168, v144, v168
	v_sub_f16_e32 v146, v169, v146
	;; [unrolled: 1-line block ×4, first 2 shown]
	ds_write2_b32 v69, v30, v31 offset1:52
	v_pack_b32_f16 v30, v162, v34
	v_pack_b32_f16 v28, v28, v165
	;; [unrolled: 1-line block ×4, first 2 shown]
	v_fma_f16 v144, v144, 2.0, -v168
	v_fma_f16 v169, v169, 2.0, -v146
	;; [unrolled: 1-line block ×4, first 2 shown]
	ds_write2_b32 v138, v30, v31 offset0:164 offset1:216
	ds_write2_b32 v69, v28, v29 offset0:104 offset1:156
	v_pack_b32_f16 v28, v166, v36
	v_pack_b32_f16 v30, v168, v146
	v_sub_f16_e32 v172, v148, v172
	v_sub_f16_e32 v150, v173, v150
	v_sub_f16_e32 v174, v149, v174
	v_sub_f16_e32 v151, v175, v151
	v_pack_b32_f16 v29, v144, v169
	ds_write2_b32 v139, v28, v30 offset0:12 offset1:64
	v_pack_b32_f16 v28, v145, v171
	v_fma_f16 v148, v148, 2.0, -v172
	v_fma_f16 v173, v173, 2.0, -v150
	v_fma_f16 v149, v149, 2.0, -v174
	v_fma_f16 v175, v175, 2.0, -v151
	ds_write2_b32 v140, v29, v28 offset0:80 offset1:132
	v_pack_b32_f16 v28, v170, v147
	v_pack_b32_f16 v30, v172, v150
	v_sub_f16_e32 v176, v152, v176
	v_sub_f16_e32 v154, v177, v154
	v_sub_f16_e32 v178, v153, v178
	v_sub_f16_e32 v155, v179, v155
	v_pack_b32_f16 v29, v148, v173
	ds_write2_b32 v139, v28, v30 offset0:116 offset1:168
	v_pack_b32_f16 v28, v149, v175
	v_fma_f16 v152, v152, 2.0, -v176
	v_fma_f16 v177, v177, 2.0, -v154
	v_fma_f16 v153, v153, 2.0, -v178
	v_fma_f16 v179, v179, 2.0, -v155
	;; [unrolled: 14-line block ×3, first 2 shown]
	ds_write2_b32 v141, v29, v28 offset0:160 offset1:212
	v_pack_b32_f16 v28, v178, v155
	v_pack_b32_f16 v30, v180, v158
	;; [unrolled: 1-line block ×3, first 2 shown]
	ds_write2_b32 v27, v28, v30 offset0:68 offset1:120
	v_pack_b32_f16 v28, v157, v183
	ds_write2_b32 v138, v29, v28 offset0:8 offset1:60
	v_pack_b32_f16 v28, v182, v159
	ds_write_b32 v69, v28 offset:4784
	v_add_co_u32_e64 v28, s[0:1], s4, v160
	v_addc_co_u32_e64 v29, s[0:1], 0, v161, s[0:1]
	s_waitcnt lgkmcnt(0)
	; wave barrier
	s_waitcnt lgkmcnt(0)
	global_load_dword v34, v[28:29], off offset:896
	s_movk_i32 s0, 0x1380
	v_add_co_u32_e64 v28, s[0:1], s0, v160
	v_addc_co_u32_e64 v29, s[0:1], 0, v161, s[0:1]
	global_load_dword v35, v[28:29], off offset:2496
	global_load_dword v36, v[28:29], off offset:208
	;; [unrolled: 1-line block ×9, first 2 shown]
	ds_read2_b32 v[30:31], v69 offset1:52
	s_movk_i32 s0, 0x2000
	v_add_co_u32_e64 v32, s[0:1], s0, v160
	v_addc_co_u32_e64 v33, s[0:1], 0, v161, s[0:1]
	s_waitcnt lgkmcnt(0)
	v_lshrrev_b32_e32 v150, 16, v30
	global_load_dword v152, v[32:33], off offset:960
	global_load_dword v153, v[32:33], off offset:1168
	;; [unrolled: 1-line block ×6, first 2 shown]
	s_waitcnt vmcnt(15)
	v_mul_f16_sdwa v32, v150, v34 dst_sel:DWORD dst_unused:UNUSED_PAD src0_sel:DWORD src1_sel:WORD_1
	v_fma_f16 v32, v30, v34, -v32
	v_mul_f16_sdwa v30, v30, v34 dst_sel:DWORD dst_unused:UNUSED_PAD src0_sel:DWORD src1_sel:WORD_1
	v_fma_f16 v30, v150, v34, v30
	v_pack_b32_f16 v30, v32, v30
	ds_write_b32 v69, v30
	ds_read2_b32 v[32:33], v138 offset0:112 offset1:164
	global_load_dword v34, v[28:29], off offset:3536
	global_load_dword v150, v[28:29], off offset:3744
	;; [unrolled: 1-line block ×6, first 2 shown]
	s_waitcnt lgkmcnt(0)
	v_lshrrev_b32_e32 v30, 16, v32
	s_waitcnt vmcnt(20)
	v_mul_f16_sdwa v162, v30, v35 dst_sel:DWORD dst_unused:UNUSED_PAD src0_sel:DWORD src1_sel:WORD_1
	v_fma_f16 v162, v32, v35, -v162
	v_mul_f16_sdwa v32, v32, v35 dst_sel:DWORD dst_unused:UNUSED_PAD src0_sel:DWORD src1_sel:WORD_1
	v_fma_f16 v30, v30, v35, v32
	v_pack_b32_f16 v32, v162, v30
	global_load_dword v35, v[28:29], off offset:1456
	global_load_dword v162, v[28:29], off offset:1664
	v_lshrrev_b32_e32 v30, 16, v31
	s_waitcnt vmcnt(21)
	v_mul_f16_sdwa v28, v30, v36 dst_sel:DWORD dst_unused:UNUSED_PAD src0_sel:DWORD src1_sel:WORD_1
	v_mul_f16_sdwa v29, v31, v36 dst_sel:DWORD dst_unused:UNUSED_PAD src0_sel:DWORD src1_sel:WORD_1
	v_fma_f16 v28, v31, v36, -v28
	v_fma_f16 v29, v30, v36, v29
	v_pack_b32_f16 v36, v28, v29
	ds_read2_b32 v[28:29], v69 offset0:104 offset1:156
	v_lshrrev_b32_e32 v30, 16, v33
	s_waitcnt vmcnt(20)
	v_mul_f16_sdwa v31, v30, v144 dst_sel:DWORD dst_unused:UNUSED_PAD src0_sel:DWORD src1_sel:WORD_1
	v_fma_f16 v31, v33, v144, -v31
	v_mul_f16_sdwa v33, v33, v144 dst_sel:DWORD dst_unused:UNUSED_PAD src0_sel:DWORD src1_sel:WORD_1
	v_fma_f16 v30, v30, v144, v33
	s_waitcnt lgkmcnt(0)
	v_lshrrev_b32_e32 v144, 16, v28
	v_pack_b32_f16 v33, v31, v30
	s_waitcnt vmcnt(19)
	v_mul_f16_sdwa v30, v144, v145 dst_sel:DWORD dst_unused:UNUSED_PAD src0_sel:DWORD src1_sel:WORD_1
	v_fma_f16 v163, v28, v145, -v30
	ds_read2_b32 v[30:31], v15 offset0:88 offset1:140
	v_mul_f16_sdwa v28, v28, v145 dst_sel:DWORD dst_unused:UNUSED_PAD src0_sel:DWORD src1_sel:WORD_1
	v_fma_f16 v28, v144, v145, v28
	v_pack_b32_f16 v28, v163, v28
	ds_write2_b32 v69, v36, v28 offset0:52 offset1:104
	s_waitcnt lgkmcnt(1)
	v_lshrrev_b32_e32 v28, 16, v30
	s_waitcnt vmcnt(18)
	v_mul_f16_sdwa v36, v28, v146 dst_sel:DWORD dst_unused:UNUSED_PAD src0_sel:DWORD src1_sel:WORD_1
	v_fma_f16 v36, v30, v146, -v36
	v_mul_f16_sdwa v30, v30, v146 dst_sel:DWORD dst_unused:UNUSED_PAD src0_sel:DWORD src1_sel:WORD_1
	v_fma_f16 v28, v28, v146, v30
	v_pack_b32_f16 v28, v36, v28
	ds_write2_b32 v138, v33, v28 offset0:164 offset1:216
	v_lshrrev_b32_e32 v28, 16, v29
	s_waitcnt vmcnt(17)
	v_mul_f16_sdwa v30, v28, v147 dst_sel:DWORD dst_unused:UNUSED_PAD src0_sel:DWORD src1_sel:WORD_1
	v_fma_f16 v30, v29, v147, -v30
	v_mul_f16_sdwa v29, v29, v147 dst_sel:DWORD dst_unused:UNUSED_PAD src0_sel:DWORD src1_sel:WORD_1
	v_fma_f16 v28, v28, v147, v29
	v_pack_b32_f16 v33, v30, v28
	ds_read2_b32 v[28:29], v140 offset0:80 offset1:132
	v_lshrrev_b32_e32 v30, 16, v31
	s_waitcnt vmcnt(16)
	v_mul_f16_sdwa v36, v30, v148 dst_sel:DWORD dst_unused:UNUSED_PAD src0_sel:DWORD src1_sel:WORD_1
	v_fma_f16 v36, v31, v148, -v36
	v_mul_f16_sdwa v31, v31, v148 dst_sel:DWORD dst_unused:UNUSED_PAD src0_sel:DWORD src1_sel:WORD_1
	v_fma_f16 v30, v30, v148, v31
	s_waitcnt lgkmcnt(0)
	v_lshrrev_b32_e32 v144, 16, v28
	v_pack_b32_f16 v36, v36, v30
	s_waitcnt vmcnt(15)
	v_mul_f16_sdwa v30, v144, v149 dst_sel:DWORD dst_unused:UNUSED_PAD src0_sel:DWORD src1_sel:WORD_1
	v_fma_f16 v145, v28, v149, -v30
	ds_read2_b32 v[30:31], v139 offset0:64 offset1:116
	v_mul_f16_sdwa v28, v28, v149 dst_sel:DWORD dst_unused:UNUSED_PAD src0_sel:DWORD src1_sel:WORD_1
	v_fma_f16 v28, v144, v149, v28
	v_pack_b32_f16 v28, v145, v28
	ds_write2_b32 v69, v33, v28 offset0:156 offset1:208
	s_waitcnt lgkmcnt(1)
	v_lshrrev_b32_e32 v28, 16, v30
	s_waitcnt vmcnt(14)
	v_mul_f16_sdwa v33, v28, v151 dst_sel:DWORD dst_unused:UNUSED_PAD src0_sel:DWORD src1_sel:WORD_1
	v_fma_f16 v33, v30, v151, -v33
	v_mul_f16_sdwa v30, v30, v151 dst_sel:DWORD dst_unused:UNUSED_PAD src0_sel:DWORD src1_sel:WORD_1
	v_fma_f16 v28, v28, v151, v30
	v_pack_b32_f16 v28, v33, v28
	ds_write2_b32 v139, v36, v28 offset0:12 offset1:64
	v_lshrrev_b32_e32 v28, 16, v29
	s_waitcnt vmcnt(8)
	v_mul_f16_sdwa v30, v28, v157 dst_sel:DWORD dst_unused:UNUSED_PAD src0_sel:DWORD src1_sel:WORD_1
	v_fma_f16 v30, v29, v157, -v30
	v_mul_f16_sdwa v29, v29, v157 dst_sel:DWORD dst_unused:UNUSED_PAD src0_sel:DWORD src1_sel:WORD_1
	v_fma_f16 v28, v28, v157, v29
	v_pack_b32_f16 v33, v30, v28
	ds_read2_b32 v[28:29], v141 offset0:56 offset1:108
	v_lshrrev_b32_e32 v30, 16, v31
	s_waitcnt vmcnt(7)
	v_mul_f16_sdwa v36, v30, v34 dst_sel:DWORD dst_unused:UNUSED_PAD src0_sel:DWORD src1_sel:WORD_1
	v_fma_f16 v36, v31, v34, -v36
	v_mul_f16_sdwa v31, v31, v34 dst_sel:DWORD dst_unused:UNUSED_PAD src0_sel:DWORD src1_sel:WORD_1
	v_fma_f16 v30, v30, v34, v31
	v_pack_b32_f16 v34, v36, v30
	s_waitcnt lgkmcnt(0)
	v_lshrrev_b32_e32 v36, 16, v28
	s_waitcnt vmcnt(5)
	v_mul_f16_sdwa v30, v36, v158 dst_sel:DWORD dst_unused:UNUSED_PAD src0_sel:DWORD src1_sel:WORD_1
	v_fma_f16 v144, v28, v158, -v30
	ds_read2_b32 v[30:31], v139 offset0:168 offset1:220
	v_mul_f16_sdwa v28, v28, v158 dst_sel:DWORD dst_unused:UNUSED_PAD src0_sel:DWORD src1_sel:WORD_1
	v_fma_f16 v28, v36, v158, v28
	v_pack_b32_f16 v28, v144, v28
	ds_write2_b32 v141, v33, v28 offset0:4 offset1:56
	s_waitcnt lgkmcnt(1)
	v_lshrrev_b32_e32 v28, 16, v30
	v_mul_f16_sdwa v33, v28, v150 dst_sel:DWORD dst_unused:UNUSED_PAD src0_sel:DWORD src1_sel:WORD_1
	v_fma_f16 v33, v30, v150, -v33
	v_mul_f16_sdwa v30, v30, v150 dst_sel:DWORD dst_unused:UNUSED_PAD src0_sel:DWORD src1_sel:WORD_1
	v_fma_f16 v28, v28, v150, v30
	v_pack_b32_f16 v28, v33, v28
	ds_write2_b32 v139, v34, v28 offset0:116 offset1:168
	v_lshrrev_b32_e32 v28, 16, v29
	s_waitcnt vmcnt(1)
	v_mul_f16_sdwa v30, v28, v35 dst_sel:DWORD dst_unused:UNUSED_PAD src0_sel:DWORD src1_sel:WORD_1
	v_fma_f16 v30, v29, v35, -v30
	v_mul_f16_sdwa v29, v29, v35 dst_sel:DWORD dst_unused:UNUSED_PAD src0_sel:DWORD src1_sel:WORD_1
	v_fma_f16 v28, v28, v35, v29
	v_pack_b32_f16 v33, v30, v28
	ds_read2_b32 v[28:29], v141 offset0:160 offset1:212
	v_lshrrev_b32_e32 v30, 16, v31
	v_mul_f16_sdwa v34, v30, v156 dst_sel:DWORD dst_unused:UNUSED_PAD src0_sel:DWORD src1_sel:WORD_1
	v_fma_f16 v34, v31, v156, -v34
	v_mul_f16_sdwa v31, v31, v156 dst_sel:DWORD dst_unused:UNUSED_PAD src0_sel:DWORD src1_sel:WORD_1
	v_fma_f16 v30, v30, v156, v31
	s_waitcnt lgkmcnt(0)
	v_lshrrev_b32_e32 v35, 16, v28
	v_pack_b32_f16 v34, v34, v30
	s_waitcnt vmcnt(0)
	v_mul_f16_sdwa v30, v35, v162 dst_sel:DWORD dst_unused:UNUSED_PAD src0_sel:DWORD src1_sel:WORD_1
	v_fma_f16 v36, v28, v162, -v30
	ds_read2_b32 v[30:31], v27 offset0:16 offset1:68
	v_mul_f16_sdwa v28, v28, v162 dst_sel:DWORD dst_unused:UNUSED_PAD src0_sel:DWORD src1_sel:WORD_1
	v_fma_f16 v28, v35, v162, v28
	v_pack_b32_f16 v28, v36, v28
	ds_write2_b32 v141, v33, v28 offset0:108 offset1:160
	s_waitcnt lgkmcnt(1)
	v_lshrrev_b32_e32 v28, 16, v30
	v_mul_f16_sdwa v33, v28, v152 dst_sel:DWORD dst_unused:UNUSED_PAD src0_sel:DWORD src1_sel:WORD_1
	v_fma_f16 v33, v30, v152, -v33
	v_mul_f16_sdwa v30, v30, v152 dst_sel:DWORD dst_unused:UNUSED_PAD src0_sel:DWORD src1_sel:WORD_1
	v_fma_f16 v28, v28, v152, v30
	v_pack_b32_f16 v28, v33, v28
	ds_write2_b32 v143, v34, v28 offset0:92 offset1:144
	v_lshrrev_b32_e32 v28, 16, v29
	v_mul_f16_sdwa v30, v28, v159 dst_sel:DWORD dst_unused:UNUSED_PAD src0_sel:DWORD src1_sel:WORD_1
	v_fma_f16 v30, v29, v159, -v30
	v_mul_f16_sdwa v29, v29, v159 dst_sel:DWORD dst_unused:UNUSED_PAD src0_sel:DWORD src1_sel:WORD_1
	v_fma_f16 v28, v28, v159, v29
	v_pack_b32_f16 v33, v30, v28
	ds_read2_b32 v[28:29], v138 offset0:8 offset1:60
	v_lshrrev_b32_e32 v30, 16, v31
	v_mul_f16_sdwa v34, v30, v153 dst_sel:DWORD dst_unused:UNUSED_PAD src0_sel:DWORD src1_sel:WORD_1
	v_fma_f16 v34, v31, v153, -v34
	v_mul_f16_sdwa v31, v31, v153 dst_sel:DWORD dst_unused:UNUSED_PAD src0_sel:DWORD src1_sel:WORD_1
	v_fma_f16 v30, v30, v153, v31
	s_waitcnt lgkmcnt(0)
	v_lshrrev_b32_e32 v35, 16, v28
	v_pack_b32_f16 v34, v34, v30
	v_mul_f16_sdwa v30, v35, v160 dst_sel:DWORD dst_unused:UNUSED_PAD src0_sel:DWORD src1_sel:WORD_1
	v_fma_f16 v36, v28, v160, -v30
	ds_read2_b32 v[30:31], v27 offset0:120 offset1:172
	v_mul_f16_sdwa v28, v28, v160 dst_sel:DWORD dst_unused:UNUSED_PAD src0_sel:DWORD src1_sel:WORD_1
	v_fma_f16 v28, v35, v160, v28
	v_pack_b32_f16 v28, v36, v28
	ds_write2_b32 v142, v33, v28 offset0:84 offset1:136
	s_waitcnt lgkmcnt(1)
	v_lshrrev_b32_e32 v28, 16, v30
	v_mul_f16_sdwa v33, v28, v154 dst_sel:DWORD dst_unused:UNUSED_PAD src0_sel:DWORD src1_sel:WORD_1
	v_fma_f16 v33, v30, v154, -v33
	v_mul_f16_sdwa v30, v30, v154 dst_sel:DWORD dst_unused:UNUSED_PAD src0_sel:DWORD src1_sel:WORD_1
	v_fma_f16 v28, v28, v154, v30
	v_pack_b32_f16 v28, v33, v28
	ds_write2_b32 v27, v34, v28 offset0:68 offset1:120
	v_lshrrev_b32_e32 v28, 16, v29
	v_mul_f16_sdwa v30, v28, v161 dst_sel:DWORD dst_unused:UNUSED_PAD src0_sel:DWORD src1_sel:WORD_1
	v_fma_f16 v30, v29, v161, -v30
	v_mul_f16_sdwa v29, v29, v161 dst_sel:DWORD dst_unused:UNUSED_PAD src0_sel:DWORD src1_sel:WORD_1
	v_fma_f16 v28, v28, v161, v29
	v_pack_b32_f16 v28, v30, v28
	ds_write2_b32 v138, v28, v32 offset0:60 offset1:112
	v_lshrrev_b32_e32 v28, 16, v31
	v_mul_f16_sdwa v29, v28, v155 dst_sel:DWORD dst_unused:UNUSED_PAD src0_sel:DWORD src1_sel:WORD_1
	v_mul_f16_sdwa v30, v31, v155 dst_sel:DWORD dst_unused:UNUSED_PAD src0_sel:DWORD src1_sel:WORD_1
	v_fma_f16 v29, v31, v155, -v29
	v_fma_f16 v28, v28, v155, v30
	v_pack_b32_f16 v28, v29, v28
	ds_write_b32 v69, v28 offset:4784
	s_waitcnt lgkmcnt(0)
	; wave barrier
	s_waitcnt lgkmcnt(0)
	ds_read2_b32 v[28:29], v69 offset1:52
	ds_read2_b32 v[30:31], v138 offset0:112 offset1:164
	ds_read2_b32 v[32:33], v69 offset0:104 offset1:156
	;; [unrolled: 1-line block ×3, first 2 shown]
	s_waitcnt lgkmcnt(2)
	v_pk_add_f16 v145, v28, v30 neg_lo:[0,1] neg_hi:[0,1]
	v_pk_add_f16 v30, v29, v31 neg_lo:[0,1] neg_hi:[0,1]
	s_waitcnt lgkmcnt(0)
	v_pk_add_f16 v147, v32, v34 neg_lo:[0,1] neg_hi:[0,1]
	v_pk_fma_f16 v146, v32, 2.0, v147 op_sel_hi:[1,0,1] neg_lo:[0,0,1] neg_hi:[0,0,1]
	ds_read2_b32 v[31:32], v140 offset0:80 offset1:132
	ds_read2_b32 v[148:149], v139 offset0:64 offset1:116
	v_pk_add_f16 v34, v33, v35 neg_lo:[0,1] neg_hi:[0,1]
	ds_read2_b32 v[35:36], v141 offset0:56 offset1:108
	ds_read2_b32 v[150:151], v139 offset0:168 offset1:220
	;; [unrolled: 1-line block ×4, first 2 shown]
	v_pk_fma_f16 v144, v28, 2.0, v145 op_sel_hi:[1,0,1] neg_lo:[0,0,1] neg_hi:[0,0,1]
	s_waitcnt lgkmcnt(4)
	v_pk_add_f16 v149, v32, v149 neg_lo:[0,1] neg_hi:[0,1]
	v_pk_add_f16 v153, v31, v148 neg_lo:[0,1] neg_hi:[0,1]
	v_pk_fma_f16 v148, v32, 2.0, v149 op_sel_hi:[1,0,1] neg_lo:[0,0,1] neg_hi:[0,0,1]
	s_waitcnt lgkmcnt(2)
	v_pk_add_f16 v32, v35, v150 neg_lo:[0,1] neg_hi:[0,1]
	v_pk_add_f16 v151, v36, v151 neg_lo:[0,1] neg_hi:[0,1]
	v_pk_fma_f16 v152, v31, 2.0, v153 op_sel_hi:[1,0,1] neg_lo:[0,0,1] neg_hi:[0,0,1]
	v_pk_fma_f16 v31, v35, 2.0, v32 op_sel_hi:[1,0,1] neg_lo:[0,0,1] neg_hi:[0,0,1]
	;; [unrolled: 1-line block ×3, first 2 shown]
	ds_read2_b32 v[35:36], v138 offset0:8 offset1:60
	ds_read2_b32 v[158:159], v27 offset0:120 offset1:172
	v_pk_fma_f16 v29, v29, 2.0, v30 op_sel_hi:[1,0,1] neg_lo:[0,0,1] neg_hi:[0,0,1]
	s_waitcnt lgkmcnt(2)
	v_pk_add_f16 v161, v154, v156 neg_lo:[0,1] neg_hi:[0,1]
	v_pk_add_f16 v156, v155, v157 neg_lo:[0,1] neg_hi:[0,1]
	v_pk_fma_f16 v33, v33, 2.0, v34 op_sel_hi:[1,0,1] neg_lo:[0,0,1] neg_hi:[0,0,1]
	s_waitcnt lgkmcnt(0)
	v_pk_add_f16 v158, v35, v158 neg_lo:[0,1] neg_hi:[0,1]
	v_pk_add_f16 v163, v36, v159 neg_lo:[0,1] neg_hi:[0,1]
	v_pk_fma_f16 v160, v154, 2.0, v161 op_sel_hi:[1,0,1] neg_lo:[0,0,1] neg_hi:[0,0,1]
	v_pk_fma_f16 v155, v155, 2.0, v156 op_sel_hi:[1,0,1] neg_lo:[0,0,1] neg_hi:[0,0,1]
	;; [unrolled: 1-line block ×4, first 2 shown]
	s_waitcnt lgkmcnt(0)
	; wave barrier
	ds_write_b64 v38, v[144:145]
	ds_write_b64 v39, v[29:30]
	;; [unrolled: 1-line block ×12, first 2 shown]
	s_waitcnt lgkmcnt(0)
	; wave barrier
	s_waitcnt lgkmcnt(0)
	ds_read2_b32 v[28:29], v69 offset1:52
	ds_read2_b32 v[30:31], v138 offset0:112 offset1:164
	ds_read2_b32 v[34:35], v15 offset0:88 offset1:140
	;; [unrolled: 1-line block ×5, first 2 shown]
	s_waitcnt lgkmcnt(4)
	v_lshrrev_b32_e32 v48, 16, v30
	v_mul_f16_sdwa v169, v37, v48 dst_sel:DWORD dst_unused:UNUSED_PAD src0_sel:WORD_1 src1_sel:DWORD
	v_lshrrev_b32_e32 v78, 16, v31
	v_fma_f16 v169, v37, v30, v169
	v_mul_f16_sdwa v30, v37, v30 dst_sel:DWORD dst_unused:UNUSED_PAD src0_sel:WORD_1 src1_sel:DWORD
	v_fma_f16 v30, v37, v48, -v30
	v_mul_f16_sdwa v48, v37, v78 dst_sel:DWORD dst_unused:UNUSED_PAD src0_sel:WORD_1 src1_sel:DWORD
	s_waitcnt lgkmcnt(3)
	v_lshrrev_b32_e32 v149, 16, v34
	v_fma_f16 v48, v37, v31, v48
	v_mul_f16_sdwa v31, v37, v31 dst_sel:DWORD dst_unused:UNUSED_PAD src0_sel:WORD_1 src1_sel:DWORD
	v_fma_f16 v31, v37, v78, -v31
	v_mul_f16_sdwa v78, v37, v149 dst_sel:DWORD dst_unused:UNUSED_PAD src0_sel:WORD_1 src1_sel:DWORD
	v_lshrrev_b32_e32 v151, 16, v35
	v_fma_f16 v78, v37, v34, v78
	v_mul_f16_sdwa v34, v37, v34 dst_sel:DWORD dst_unused:UNUSED_PAD src0_sel:WORD_1 src1_sel:DWORD
	v_fma_f16 v34, v37, v149, -v34
	v_mul_f16_sdwa v149, v37, v151 dst_sel:DWORD dst_unused:UNUSED_PAD src0_sel:WORD_1 src1_sel:DWORD
	s_waitcnt lgkmcnt(2)
	v_lshrrev_b32_e32 v155, 16, v40
	v_fma_f16 v149, v37, v35, v149
	v_mul_f16_sdwa v35, v37, v35 dst_sel:DWORD dst_unused:UNUSED_PAD src0_sel:WORD_1 src1_sel:DWORD
	v_fma_f16 v35, v37, v151, -v35
	;; [unrolled: 11-line block ×3, first 2 shown]
	v_mul_f16_sdwa v157, v37, v159 dst_sel:DWORD dst_unused:UNUSED_PAD src0_sel:WORD_1 src1_sel:DWORD
	v_lshrrev_b32_e32 v161, 16, v45
	v_fma_f16 v157, v37, v44, v157
	v_mul_f16_sdwa v44, v37, v44 dst_sel:DWORD dst_unused:UNUSED_PAD src0_sel:WORD_1 src1_sel:DWORD
	ds_read2_b32 v[32:33], v69 offset0:104 offset1:156
	ds_read2_b32 v[38:39], v140 offset0:80 offset1:132
	;; [unrolled: 1-line block ×6, first 2 shown]
	v_fma_f16 v44, v37, v159, -v44
	v_mul_f16_sdwa v159, v37, v161 dst_sel:DWORD dst_unused:UNUSED_PAD src0_sel:WORD_1 src1_sel:DWORD
	s_waitcnt lgkmcnt(6)
	v_lshrrev_b32_e32 v27, 16, v144
	v_fma_f16 v159, v37, v45, v159
	v_mul_f16_sdwa v45, v37, v45 dst_sel:DWORD dst_unused:UNUSED_PAD src0_sel:WORD_1 src1_sel:DWORD
	v_fma_f16 v45, v37, v161, -v45
	v_mul_f16_sdwa v161, v37, v27 dst_sel:DWORD dst_unused:UNUSED_PAD src0_sel:WORD_1 src1_sel:DWORD
	v_lshrrev_b32_e32 v164, 16, v145
	v_fma_f16 v161, v37, v144, v161
	v_mul_f16_sdwa v144, v37, v144 dst_sel:DWORD dst_unused:UNUSED_PAD src0_sel:WORD_1 src1_sel:DWORD
	v_fma_f16 v144, v37, v27, -v144
	v_mul_f16_sdwa v27, v37, v164 dst_sel:DWORD dst_unused:UNUSED_PAD src0_sel:WORD_1 src1_sel:DWORD
	s_waitcnt lgkmcnt(0)
	v_lshrrev_b32_e32 v166, 16, v146
	v_fma_f16 v170, v37, v145, v27
	v_mul_f16_sdwa v27, v37, v145 dst_sel:DWORD dst_unused:UNUSED_PAD src0_sel:WORD_1 src1_sel:DWORD
	v_fma_f16 v145, v37, v164, -v27
	v_mul_f16_sdwa v27, v37, v166 dst_sel:DWORD dst_unused:UNUSED_PAD src0_sel:WORD_1 src1_sel:DWORD
	v_lshrrev_b32_e32 v168, 16, v147
	v_fma_f16 v164, v37, v146, v27
	v_mul_f16_sdwa v27, v37, v146 dst_sel:DWORD dst_unused:UNUSED_PAD src0_sel:WORD_1 src1_sel:DWORD
	v_fma_f16 v166, v37, v166, -v27
	v_mul_f16_sdwa v27, v37, v168 dst_sel:DWORD dst_unused:UNUSED_PAD src0_sel:WORD_1 src1_sel:DWORD
	v_lshrrev_b32_e32 v36, 16, v28
	v_fma_f16 v171, v37, v147, v27
	v_mul_f16_sdwa v27, v37, v147 dst_sel:DWORD dst_unused:UNUSED_PAD src0_sel:WORD_1 src1_sel:DWORD
	v_lshrrev_b32_e32 v15, 16, v29
	v_lshrrev_b32_e32 v150, 16, v33
	v_fma_f16 v37, v37, v168, -v27
	v_sub_f16_e32 v168, v28, v169
	v_sub_f16_e32 v169, v36, v30
	;; [unrolled: 1-line block ×3, first 2 shown]
	v_lshrrev_b32_e32 v148, 16, v32
	v_lshrrev_b32_e32 v167, 16, v154
	v_fma_f16 v172, v28, 2.0, -v168
	v_fma_f16 v173, v36, 2.0, -v169
	v_sub_f16_e32 v48, v29, v48
	v_sub_f16_e32 v174, v15, v31
	;; [unrolled: 1-line block ×4, first 2 shown]
	v_fma_f16 v183, v33, 2.0, -v181
	v_sub_f16_e32 v33, v43, v159
	v_sub_f16_e32 v35, v153, v164
	v_lshrrev_b32_e32 v160, 16, v43
	v_lshrrev_b32_e32 v165, 16, v153
	v_fma_f16 v175, v29, 2.0, -v48
	v_fma_f16 v176, v15, 2.0, -v174
	v_sub_f16_e32 v178, v148, v34
	v_fma_f16 v179, v32, 2.0, -v177
	v_fma_f16 v28, v43, 2.0, -v33
	;; [unrolled: 1-line block ×3, first 2 shown]
	v_sub_f16_e32 v153, v167, v37
	v_pack_b32_f16 v37, v172, v173
	v_pack_b32_f16 v43, v168, v169
	v_lshrrev_b32_e32 v152, 16, v38
	v_fma_f16 v180, v148, 2.0, -v178
	s_waitcnt lgkmcnt(0)
	; wave barrier
	ds_write2_b32 v79, v37, v43 offset1:2
	v_pack_b32_f16 v37, v175, v176
	v_pack_b32_f16 v43, v48, v174
	v_lshrrev_b32_e32 v156, 16, v39
	v_fma_f16 v184, v150, 2.0, -v182
	v_sub_f16_e32 v185, v38, v151
	v_sub_f16_e32 v40, v152, v40
	ds_write2_b32 v80, v37, v43 offset1:2
	v_pack_b32_f16 v37, v179, v180
	v_pack_b32_f16 v43, v177, v178
	v_lshrrev_b32_e32 v158, 16, v42
	v_fma_f16 v38, v38, 2.0, -v185
	v_fma_f16 v186, v152, 2.0, -v40
	v_sub_f16_e32 v155, v39, v155
	v_sub_f16_e32 v41, v156, v41
	ds_write2_b32 v81, v37, v43 offset1:2
	v_pack_b32_f16 v37, v183, v184
	v_pack_b32_f16 v43, v181, v182
	v_fma_f16 v39, v39, 2.0, -v155
	v_fma_f16 v156, v156, 2.0, -v41
	v_sub_f16_e32 v27, v42, v157
	v_sub_f16_e32 v78, v158, v44
	ds_write2_b32 v82, v37, v43 offset1:2
	v_pack_b32_f16 v37, v38, v186
	v_pack_b32_f16 v38, v185, v40
	v_lshrrev_b32_e32 v162, 16, v46
	v_fma_f16 v42, v42, 2.0, -v27
	v_fma_f16 v44, v158, 2.0, -v78
	v_sub_f16_e32 v148, v160, v45
	ds_write2_b32 v83, v37, v38 offset1:2
	v_pack_b32_f16 v37, v39, v156
	v_pack_b32_f16 v38, v155, v41
	v_lshrrev_b32_e32 v163, 16, v47
	v_fma_f16 v151, v160, 2.0, -v148
	v_sub_f16_e32 v29, v46, v161
	v_sub_f16_e32 v146, v162, v144
	ds_write2_b32 v84, v37, v38 offset1:2
	v_pack_b32_f16 v37, v42, v44
	v_pack_b32_f16 v38, v27, v78
	v_fma_f16 v34, v46, 2.0, -v29
	v_fma_f16 v149, v162, 2.0, -v146
	v_sub_f16_e32 v31, v47, v170
	v_sub_f16_e32 v144, v163, v145
	ds_write2_b32 v85, v37, v38 offset1:2
	v_pack_b32_f16 v37, v28, v151
	v_pack_b32_f16 v38, v33, v148
	v_fma_f16 v30, v47, 2.0, -v31
	v_fma_f16 v145, v163, 2.0, -v144
	v_sub_f16_e32 v150, v165, v166
	ds_write2_b32 v86, v37, v38 offset1:2
	v_pack_b32_f16 v37, v34, v149
	v_pack_b32_f16 v38, v29, v146
	v_fma_f16 v147, v165, 2.0, -v150
	v_sub_f16_e32 v15, v154, v171
	ds_write2_b32 v87, v37, v38 offset1:2
	v_pack_b32_f16 v37, v30, v145
	v_pack_b32_f16 v38, v31, v144
	v_fma_f16 v36, v154, 2.0, -v15
	v_fma_f16 v152, v167, 2.0, -v153
	ds_write2_b32 v88, v37, v38 offset1:2
	v_pack_b32_f16 v37, v32, v147
	v_pack_b32_f16 v38, v35, v150
	ds_write2_b32 v89, v37, v38 offset1:2
	v_pack_b32_f16 v37, v36, v152
	v_pack_b32_f16 v38, v15, v153
	ds_write2_b32 v90, v37, v38 offset1:2
	s_waitcnt lgkmcnt(0)
	; wave barrier
	s_waitcnt lgkmcnt(0)
	ds_read2_b32 v[37:38], v69 offset1:96
	ds_read2_b32 v[47:48], v140 offset0:64 offset1:160
	ds_read2_b32 v[45:46], v141 offset0:128 offset1:224
	;; [unrolled: 1-line block ×3, first 2 shown]
	ds_read2_b32 v[41:42], v139 offset1:96
	ds_read2_b32 v[39:40], v143 offset0:64 offset1:160
	ds_read_b32 v79, v69 offset:4608
	s_and_saveexec_b64 s[0:1], vcc
	s_cbranch_execz .LBB0_7
; %bb.6:
	ds_read2_b32 v[27:28], v69 offset0:52 offset1:148
	ds_read2_b32 v[33:34], v140 offset0:116 offset1:212
	;; [unrolled: 1-line block ×6, first 2 shown]
	ds_read_b32 v113, v69 offset:4816
	s_waitcnt lgkmcnt(6)
	v_lshrrev_b32_e32 v78, 16, v27
	v_lshrrev_b32_e32 v151, 16, v28
	s_waitcnt lgkmcnt(5)
	v_lshrrev_b32_e32 v148, 16, v33
	v_lshrrev_b32_e32 v149, 16, v34
	;; [unrolled: 3-line block ×6, first 2 shown]
	s_waitcnt lgkmcnt(0)
	v_lshrrev_b32_e32 v114, 16, v113
.LBB0_7:
	s_or_b64 exec, exec, s[0:1]
	s_waitcnt lgkmcnt(6)
	v_lshrrev_b32_e32 v80, 16, v38
	v_mul_f16_sdwa v139, v4, v80 dst_sel:DWORD dst_unused:UNUSED_PAD src0_sel:WORD_1 src1_sel:DWORD
	s_waitcnt lgkmcnt(5)
	v_lshrrev_b32_e32 v81, 16, v47
	v_fma_f16 v139, v4, v38, v139
	v_mul_f16_sdwa v38, v4, v38 dst_sel:DWORD dst_unused:UNUSED_PAD src0_sel:WORD_1 src1_sel:DWORD
	v_fma_f16 v38, v4, v80, -v38
	v_mul_f16_sdwa v80, v5, v81 dst_sel:DWORD dst_unused:UNUSED_PAD src0_sel:WORD_1 src1_sel:DWORD
	v_lshrrev_b32_e32 v82, 16, v48
	v_fma_f16 v80, v5, v47, v80
	v_mul_f16_sdwa v47, v5, v47 dst_sel:DWORD dst_unused:UNUSED_PAD src0_sel:WORD_1 src1_sel:DWORD
	v_fma_f16 v47, v5, v81, -v47
	v_mul_f16_sdwa v81, v6, v82 dst_sel:DWORD dst_unused:UNUSED_PAD src0_sel:WORD_1 src1_sel:DWORD
	s_waitcnt lgkmcnt(4)
	v_lshrrev_b32_e32 v83, 16, v45
	v_fma_f16 v81, v6, v48, v81
	v_mul_f16_sdwa v48, v6, v48 dst_sel:DWORD dst_unused:UNUSED_PAD src0_sel:WORD_1 src1_sel:DWORD
	v_fma_f16 v48, v6, v82, -v48
	v_mul_f16_sdwa v82, v7, v83 dst_sel:DWORD dst_unused:UNUSED_PAD src0_sel:WORD_1 src1_sel:DWORD
	v_lshrrev_b32_e32 v84, 16, v46
	v_fma_f16 v82, v7, v45, v82
	v_mul_f16_sdwa v45, v7, v45 dst_sel:DWORD dst_unused:UNUSED_PAD src0_sel:WORD_1 src1_sel:DWORD
	v_fma_f16 v45, v7, v83, -v45
	;; [unrolled: 11-line block ×5, first 2 shown]
	v_mul_f16_sdwa v89, v10, v90 dst_sel:DWORD dst_unused:UNUSED_PAD src0_sel:WORD_1 src1_sel:DWORD
	s_waitcnt lgkmcnt(0)
	v_lshrrev_b32_e32 v138, 16, v79
	v_fma_f16 v89, v10, v40, v89
	v_mul_f16_sdwa v40, v10, v40 dst_sel:DWORD dst_unused:UNUSED_PAD src0_sel:WORD_1 src1_sel:DWORD
	v_fma_f16 v40, v10, v90, -v40
	v_mul_f16_sdwa v90, v11, v138 dst_sel:DWORD dst_unused:UNUSED_PAD src0_sel:WORD_1 src1_sel:DWORD
	v_fma_f16 v90, v11, v79, v90
	v_mul_f16_sdwa v79, v11, v79 dst_sel:DWORD dst_unused:UNUSED_PAD src0_sel:WORD_1 src1_sel:DWORD
	v_fma_f16 v79, v11, v138, -v79
	v_add_f16_e32 v138, v37, v139
	v_add_f16_sdwa v140, v37, v38 dst_sel:DWORD dst_unused:UNUSED_PAD src0_sel:WORD_1 src1_sel:DWORD
	v_add_f16_e32 v138, v138, v80
	v_add_f16_e32 v140, v140, v47
	v_add_f16_e32 v138, v138, v81
	v_add_f16_e32 v140, v140, v48
	v_add_f16_e32 v138, v138, v82
	v_add_f16_e32 v140, v140, v45
	v_add_f16_e32 v138, v138, v83
	v_add_f16_e32 v140, v140, v46
	v_add_f16_e32 v138, v138, v84
	v_add_f16_e32 v140, v140, v43
	v_add_f16_e32 v138, v138, v85
	v_add_f16_e32 v140, v140, v44
	v_add_f16_e32 v138, v138, v86
	v_add_f16_e32 v140, v140, v41
	v_add_f16_e32 v138, v138, v87
	v_add_f16_e32 v140, v140, v42
	v_add_f16_e32 v138, v138, v88
	v_add_f16_e32 v140, v140, v39
	v_add_f16_e32 v138, v138, v89
	v_add_f16_e32 v140, v140, v40
	v_add_f16_e32 v142, v38, v79
	v_sub_f16_e32 v38, v38, v79
	v_add_f16_e32 v138, v138, v90
	v_add_f16_e32 v140, v140, v79
	;; [unrolled: 1-line block ×3, first 2 shown]
	v_sub_f16_e32 v90, v139, v90
	s_mov_b32 s5, 0xb770
	v_mul_f16_e32 v79, 0xb770, v38
	s_movk_i32 s4, 0x3b15
	v_mul_f16_e32 v143, 0x3b15, v142
	s_movk_i32 s13, 0x3770
	s_mov_b32 s7, 0xba95
	v_mul_f16_e32 v155, 0xba95, v38
	s_movk_i32 s6, 0x388b
	v_mul_f16_e32 v157, 0x388b, v142
	s_movk_i32 s23, 0x3a95
	s_mov_b32 s14, 0xbbf1
	v_mul_f16_e32 v159, 0xbbf1, v38
	s_movk_i32 s12, 0x2fb7
	v_mul_f16_e32 v161, 0x2fb7, v142
	s_movk_i32 s20, 0x3bf1
	s_mov_b32 s16, 0xbb7b
	v_mul_f16_e32 v163, 0xbb7b, v38
	s_mov_b32 s15, 0xb5ac
	v_mul_f16_e32 v165, 0xb5ac, v142
	s_movk_i32 s24, 0x3b7b
	s_mov_b32 s18, 0xb94e
	v_mul_f16_e32 v167, 0xb94e, v38
	s_mov_b32 s17, 0xb9fd
	v_mul_f16_e32 v169, 0xb9fd, v142
	s_movk_i32 s22, 0x394e
	s_mov_b32 s21, 0xb3a8
	v_mul_f16_e32 v38, 0xb3a8, v38
	s_mov_b32 s19, 0xbbc4
	v_mul_f16_e32 v142, 0xbbc4, v142
	v_fma_f16 v139, v141, s4, v79
	v_fma_f16 v154, v90, s13, v143
	v_fma_f16 v79, v141, s4, -v79
	v_fma_f16 v143, v90, s5, v143
	v_fma_f16 v156, v141, s6, v155
	v_fma_f16 v158, v90, s23, v157
	v_fma_f16 v155, v141, s6, -v155
	v_fma_f16 v157, v90, s7, v157
	v_fma_f16 v160, v141, s12, v159
	v_fma_f16 v162, v90, s20, v161
	v_fma_f16 v159, v141, s12, -v159
	v_fma_f16 v161, v90, s14, v161
	v_fma_f16 v164, v141, s15, v163
	v_fma_f16 v166, v90, s24, v165
	v_fma_f16 v163, v141, s15, -v163
	v_fma_f16 v165, v90, s16, v165
	v_fma_f16 v168, v141, s17, v167
	v_fma_f16 v170, v90, s22, v169
	v_fma_f16 v167, v141, s17, -v167
	v_fma_f16 v169, v90, s18, v169
	v_fma_f16 v171, v141, s19, v38
	v_fma_f16 v172, v90, s25, v142
	v_fma_f16 v38, v141, s19, -v38
	v_fma_f16 v90, v90, s21, v142
	v_add_f16_e32 v141, v47, v40
	v_sub_f16_e32 v40, v47, v40
	v_add_f16_e32 v139, v37, v139
	v_add_f16_sdwa v154, v37, v154 dst_sel:DWORD dst_unused:UNUSED_PAD src0_sel:WORD_1 src1_sel:DWORD
	v_add_f16_e32 v79, v37, v79
	v_add_f16_sdwa v143, v37, v143 dst_sel:DWORD dst_unused:UNUSED_PAD src0_sel:WORD_1 src1_sel:DWORD
	;; [unrolled: 2-line block ×12, first 2 shown]
	v_add_f16_e32 v90, v80, v89
	v_mul_f16_e32 v47, 0xba95, v40
	v_sub_f16_e32 v80, v80, v89
	v_fma_f16 v89, v90, s6, v47
	v_add_f16_e32 v89, v89, v139
	v_mul_f16_e32 v139, 0x388b, v141
	v_fma_f16 v47, v90, s6, -v47
	v_fma_f16 v142, v80, s23, v139
	v_add_f16_e32 v47, v47, v79
	v_fma_f16 v79, v80, s7, v139
	v_mul_f16_e32 v139, 0xbb7b, v40
	v_add_f16_e32 v142, v142, v154
	v_add_f16_e32 v79, v79, v143
	v_fma_f16 v143, v90, s15, v139
	v_mul_f16_e32 v154, 0xb5ac, v141
	v_fma_f16 v139, v90, s15, -v139
	v_add_f16_e32 v143, v143, v156
	v_fma_f16 v156, v80, s24, v154
	v_add_f16_e32 v139, v139, v155
	v_fma_f16 v154, v80, s16, v154
	v_mul_f16_e32 v155, 0xb3a8, v40
	v_add_f16_e32 v156, v156, v158
	v_add_f16_e32 v154, v154, v157
	v_fma_f16 v157, v90, s19, v155
	v_mul_f16_e32 v158, 0xbbc4, v141
	v_fma_f16 v155, v90, s19, -v155
	v_add_f16_e32 v157, v157, v160
	;; [unrolled: 10-line block ×3, first 2 shown]
	v_fma_f16 v164, v80, s18, v162
	v_add_f16_e32 v159, v159, v163
	v_fma_f16 v162, v80, s22, v162
	v_mul_f16_e32 v163, 0x3bf1, v40
	v_add_f16_e32 v164, v164, v166
	v_add_f16_e32 v162, v162, v165
	v_fma_f16 v165, v90, s12, v163
	v_mul_f16_e32 v166, 0x2fb7, v141
	v_fma_f16 v163, v90, s12, -v163
	v_mul_f16_e32 v40, 0x3770, v40
	v_add_f16_e32 v165, v165, v168
	v_fma_f16 v168, v80, s14, v166
	v_add_f16_e32 v163, v163, v167
	v_fma_f16 v166, v80, s20, v166
	v_fma_f16 v167, v90, s4, v40
	v_mul_f16_e32 v141, 0x3b15, v141
	v_fma_f16 v40, v90, s4, -v40
	v_add_f16_e32 v166, v166, v169
	v_fma_f16 v169, v80, s5, v141
	v_add_f16_e32 v38, v40, v38
	v_fma_f16 v40, v80, s13, v141
	v_add_f16_e32 v80, v48, v39
	v_sub_f16_e32 v39, v48, v39
	v_add_f16_e32 v37, v40, v37
	v_add_f16_e32 v40, v81, v88
	v_mul_f16_e32 v48, 0xbbf1, v39
	v_sub_f16_e32 v81, v81, v88
	v_fma_f16 v88, v40, s12, v48
	v_add_f16_e32 v88, v88, v89
	v_mul_f16_e32 v89, 0x2fb7, v80
	v_fma_f16 v48, v40, s12, -v48
	v_add_f16_e32 v47, v48, v47
	v_fma_f16 v48, v81, s14, v89
	v_add_f16_e32 v48, v48, v79
	v_mul_f16_e32 v79, 0xb3a8, v39
	v_fma_f16 v90, v81, s20, v89
	v_fma_f16 v89, v40, s19, v79
	v_mul_f16_e32 v141, 0xbbc4, v80
	v_fma_f16 v79, v40, s19, -v79
	v_add_f16_e32 v90, v90, v142
	v_fma_f16 v142, v81, s25, v141
	v_add_f16_e32 v79, v79, v139
	v_fma_f16 v139, v81, s21, v141
	v_mul_f16_e32 v141, 0x3b7b, v39
	v_add_f16_e32 v89, v89, v143
	v_fma_f16 v143, v40, s15, v141
	v_fma_f16 v141, v40, s15, -v141
	v_add_f16_e32 v139, v139, v154
	v_mul_f16_e32 v154, 0xb5ac, v80
	v_add_f16_e32 v141, v141, v155
	v_mul_f16_e32 v155, 0x3770, v39
	v_add_f16_e32 v142, v142, v156
	v_add_f16_e32 v143, v143, v157
	v_fma_f16 v156, v81, s16, v154
	v_fma_f16 v154, v81, s24, v154
	;; [unrolled: 1-line block ×3, first 2 shown]
	v_fma_f16 v155, v40, s4, -v155
	v_add_f16_e32 v154, v154, v158
	v_mul_f16_e32 v158, 0x3b15, v80
	v_add_f16_e32 v155, v155, v159
	v_mul_f16_e32 v159, 0xba95, v39
	v_add_f16_e32 v156, v156, v160
	v_add_f16_e32 v157, v157, v161
	v_fma_f16 v160, v81, s5, v158
	v_fma_f16 v158, v81, s13, v158
	;; [unrolled: 1-line block ×3, first 2 shown]
	v_fma_f16 v159, v40, s6, -v159
	v_mul_f16_e32 v39, 0xb94e, v39
	v_add_f16_e32 v158, v158, v162
	v_mul_f16_e32 v162, 0x388b, v80
	v_add_f16_e32 v159, v159, v163
	v_fma_f16 v163, v40, s17, v39
	v_mul_f16_e32 v80, 0xb9fd, v80
	v_fma_f16 v39, v40, s17, -v39
	v_add_f16_e32 v38, v39, v38
	v_fma_f16 v39, v81, s18, v80
	v_add_f16_e32 v40, v45, v42
	v_sub_f16_e32 v42, v45, v42
	v_add_f16_e32 v37, v39, v37
	v_add_f16_e32 v39, v82, v87
	v_mul_f16_e32 v45, 0xbb7b, v42
	v_add_f16_e32 v160, v160, v164
	v_add_f16_e32 v161, v161, v165
	v_fma_f16 v164, v81, s23, v162
	v_fma_f16 v162, v81, s7, v162
	;; [unrolled: 1-line block ×3, first 2 shown]
	v_sub_f16_e32 v80, v82, v87
	v_fma_f16 v81, v39, s15, v45
	v_mul_f16_e32 v82, 0xb5ac, v40
	v_fma_f16 v45, v39, s15, -v45
	v_add_f16_e32 v45, v45, v47
	v_fma_f16 v47, v80, s16, v82
	v_add_f16_e32 v47, v47, v48
	v_mul_f16_e32 v48, 0x394e, v42
	v_add_f16_e32 v81, v81, v88
	v_fma_f16 v87, v80, s24, v82
	v_fma_f16 v82, v39, s17, v48
	v_mul_f16_e32 v88, 0xb9fd, v40
	v_fma_f16 v48, v39, s17, -v48
	v_add_f16_e32 v82, v82, v89
	v_fma_f16 v89, v80, s18, v88
	v_add_f16_e32 v48, v48, v79
	v_fma_f16 v79, v80, s22, v88
	v_mul_f16_e32 v88, 0x3770, v42
	v_add_f16_e32 v87, v87, v90
	v_fma_f16 v90, v39, s4, v88
	v_fma_f16 v88, v39, s4, -v88
	v_add_f16_e32 v79, v79, v139
	v_mul_f16_e32 v139, 0x3b15, v40
	v_add_f16_e32 v88, v88, v141
	v_mul_f16_e32 v141, 0xbbf1, v42
	v_add_f16_e32 v89, v89, v142
	v_add_f16_e32 v90, v90, v143
	v_fma_f16 v142, v80, s5, v139
	v_fma_f16 v139, v80, s13, v139
	;; [unrolled: 1-line block ×3, first 2 shown]
	v_fma_f16 v141, v39, s12, -v141
	v_add_f16_e32 v139, v139, v154
	v_mul_f16_e32 v154, 0x2fb7, v40
	v_add_f16_e32 v141, v141, v155
	v_mul_f16_e32 v155, 0x33a8, v42
	v_add_f16_e32 v142, v142, v156
	v_add_f16_e32 v143, v143, v157
	v_fma_f16 v156, v80, s20, v154
	v_fma_f16 v154, v80, s14, v154
	;; [unrolled: 1-line block ×3, first 2 shown]
	v_fma_f16 v155, v39, s19, -v155
	v_mul_f16_e32 v42, 0x3a95, v42
	v_add_f16_e32 v154, v154, v158
	v_mul_f16_e32 v158, 0xbbc4, v40
	v_add_f16_e32 v155, v155, v159
	v_fma_f16 v159, v39, s6, v42
	v_mul_f16_e32 v40, 0x388b, v40
	v_fma_f16 v39, v39, s6, -v42
	v_add_f16_e32 v157, v157, v161
	v_fma_f16 v161, v80, s7, v40
	v_add_f16_e32 v38, v39, v38
	v_fma_f16 v39, v80, s23, v40
	v_add_f16_e32 v40, v46, v41
	v_sub_f16_e32 v41, v46, v41
	v_add_f16_e32 v37, v39, v37
	v_add_f16_e32 v39, v83, v86
	v_mul_f16_e32 v46, 0xb94e, v41
	v_add_f16_e32 v156, v156, v160
	v_fma_f16 v160, v80, s21, v158
	v_fma_f16 v158, v80, s25, v158
	;; [unrolled: 1-line block ×3, first 2 shown]
	v_sub_f16_e32 v42, v83, v86
	v_add_f16_e32 v80, v80, v81
	v_mul_f16_e32 v81, 0xb9fd, v40
	v_fma_f16 v46, v39, s17, -v46
	v_add_f16_e32 v45, v46, v45
	v_fma_f16 v46, v42, s18, v81
	v_add_f16_e32 v46, v46, v47
	v_mul_f16_e32 v47, 0x3bf1, v41
	v_fma_f16 v83, v42, s22, v81
	v_fma_f16 v81, v39, s12, v47
	v_add_f16_e32 v81, v81, v82
	v_mul_f16_e32 v82, 0x2fb7, v40
	v_fma_f16 v47, v39, s12, -v47
	v_add_f16_e32 v47, v47, v48
	v_fma_f16 v48, v42, s20, v82
	v_add_f16_e32 v48, v48, v79
	v_mul_f16_e32 v79, 0xba95, v41
	v_fma_f16 v86, v42, s14, v82
	v_fma_f16 v82, v39, s6, v79
	v_fma_f16 v79, v39, s6, -v79
	v_add_f16_e32 v83, v83, v87
	v_mul_f16_e32 v87, 0x388b, v40
	v_add_f16_e32 v79, v79, v88
	v_mul_f16_e32 v88, 0x33a8, v41
	v_add_f16_e32 v86, v86, v89
	v_add_f16_e32 v82, v82, v90
	v_fma_f16 v89, v42, s23, v87
	v_fma_f16 v87, v42, s7, v87
	v_fma_f16 v90, v39, s19, v88
	v_fma_f16 v88, v39, s19, -v88
	v_add_f16_e32 v87, v87, v139
	v_mul_f16_e32 v139, 0xbbc4, v40
	v_add_f16_e32 v88, v88, v141
	v_mul_f16_e32 v141, 0x3770, v41
	v_add_f16_e32 v89, v89, v142
	v_add_f16_e32 v90, v90, v143
	v_fma_f16 v142, v42, s21, v139
	v_fma_f16 v139, v42, s25, v139
	;; [unrolled: 1-line block ×3, first 2 shown]
	v_fma_f16 v141, v39, s4, -v141
	v_mul_f16_e32 v41, 0xbb7b, v41
	v_add_f16_e32 v139, v139, v154
	v_mul_f16_e32 v154, 0x3b15, v40
	v_add_f16_e32 v141, v141, v155
	v_fma_f16 v155, v39, s15, v41
	v_mul_f16_e32 v40, 0xb5ac, v40
	v_fma_f16 v39, v39, s15, -v41
	v_add_f16_e32 v142, v142, v156
	v_add_f16_e32 v143, v143, v157
	v_fma_f16 v156, v42, s5, v154
	v_fma_f16 v154, v42, s13, v154
	;; [unrolled: 1-line block ×3, first 2 shown]
	v_add_f16_e32 v38, v39, v38
	v_fma_f16 v39, v42, s16, v40
	v_sub_f16_e32 v42, v43, v44
	v_add_f16_e32 v37, v39, v37
	v_add_f16_e32 v39, v84, v85
	;; [unrolled: 1-line block ×3, first 2 shown]
	v_mul_f16_e32 v43, 0xb3a8, v42
	v_fma_f16 v44, v39, s19, v43
	v_sub_f16_e32 v41, v84, v85
	v_add_f16_e32 v44, v44, v80
	v_mul_f16_e32 v80, 0xbbc4, v40
	v_fma_f16 v43, v39, s19, -v43
	v_add_f16_e32 v43, v43, v45
	v_fma_f16 v45, v41, s21, v80
	v_add_f16_e32 v45, v45, v46
	v_mul_f16_e32 v46, 0x3770, v42
	v_fma_f16 v84, v41, s25, v80
	v_fma_f16 v80, v39, s4, v46
	v_add_f16_e32 v80, v80, v81
	v_mul_f16_e32 v81, 0x3b15, v40
	v_fma_f16 v46, v39, s4, -v46
	v_add_f16_e32 v46, v46, v47
	v_fma_f16 v47, v41, s13, v81
	v_add_f16_e32 v47, v47, v48
	v_mul_f16_e32 v48, 0xb94e, v42
	v_add_f16_e32 v83, v84, v83
	v_fma_f16 v84, v41, s5, v81
	v_fma_f16 v81, v39, s17, v48
	v_add_f16_e32 v81, v81, v82
	v_mul_f16_e32 v82, 0xb9fd, v40
	v_fma_f16 v48, v39, s17, -v48
	v_fma_f16 v85, v41, s22, v82
	v_add_f16_e32 v48, v48, v79
	v_fma_f16 v79, v41, s18, v82
	v_mul_f16_e32 v82, 0x3a95, v42
	v_add_f16_e32 v84, v84, v86
	v_fma_f16 v86, v39, s6, v82
	v_fma_f16 v82, v39, s6, -v82
	v_add_f16_e32 v79, v79, v87
	v_mul_f16_e32 v87, 0x388b, v40
	v_add_f16_e32 v82, v82, v88
	v_mul_f16_e32 v88, 0xbb7b, v42
	v_add_f16_e32 v168, v168, v170
	v_add_f16_e32 v85, v85, v89
	;; [unrolled: 1-line block ×3, first 2 shown]
	v_fma_f16 v89, v41, s7, v87
	v_fma_f16 v87, v41, s23, v87
	;; [unrolled: 1-line block ×3, first 2 shown]
	v_fma_f16 v88, v39, s15, -v88
	v_mul_f16_e32 v42, 0x3bf1, v42
	v_add_f16_e32 v167, v167, v171
	v_add_f16_e32 v169, v169, v172
	v_add_f16_e32 v164, v164, v168
	v_add_f16_e32 v87, v87, v139
	v_mul_f16_e32 v139, 0xb5ac, v40
	v_add_f16_e32 v88, v88, v141
	v_fma_f16 v141, v39, s12, v42
	v_mul_f16_e32 v40, 0x2fb7, v40
	v_fma_f16 v39, v39, s12, -v42
	v_add_f16_e32 v163, v163, v167
	v_add_f16_e32 v165, v165, v169
	;; [unrolled: 1-line block ×4, first 2 shown]
	v_fma_f16 v39, v41, s20, v40
	v_add_f16_e32 v162, v162, v166
	v_add_f16_e32 v159, v159, v163
	;; [unrolled: 1-line block ×6, first 2 shown]
	v_fma_f16 v142, v41, s24, v139
	v_fma_f16 v143, v41, s14, v40
	v_add_f16_e32 v37, v39, v37
	v_pack_b32_f16 v39, v138, v140
	v_pack_b32_f16 v40, v44, v83
	v_add_f16_e32 v158, v158, v162
	v_add_f16_e32 v155, v155, v159
	;; [unrolled: 1-line block ×4, first 2 shown]
	s_waitcnt lgkmcnt(0)
	; wave barrier
	ds_write2_b32 v112, v39, v40 offset1:4
	v_pack_b32_f16 v39, v80, v84
	v_pack_b32_f16 v40, v81, v85
	v_add_f16_e32 v154, v154, v158
	v_fma_f16 v139, v41, s16, v139
	v_add_f16_e32 v141, v141, v155
	v_add_f16_e32 v143, v143, v157
	ds_write2_b32 v112, v39, v40 offset0:8 offset1:12
	v_pack_b32_f16 v39, v86, v89
	v_pack_b32_f16 v40, v90, v142
	v_add_f16_e32 v139, v139, v154
	ds_write2_b32 v112, v39, v40 offset0:16 offset1:20
	v_pack_b32_f16 v39, v141, v143
	v_pack_b32_f16 v37, v38, v37
	ds_write2_b32 v112, v39, v37 offset0:24 offset1:28
	v_pack_b32_f16 v37, v88, v139
	v_pack_b32_f16 v38, v82, v87
	;; [unrolled: 3-line block ×3, first 2 shown]
	ds_write2_b32 v112, v37, v38 offset0:40 offset1:44
	v_pack_b32_f16 v37, v43, v45
	ds_write_b32 v112, v37 offset:192
	s_and_saveexec_b64 s[0:1], vcc
	s_cbranch_execz .LBB0_9
; %bb.8:
	v_mul_f16_sdwa v37, v4, v151 dst_sel:DWORD dst_unused:UNUSED_PAD src0_sel:WORD_1 src1_sel:DWORD
	v_mul_f16_sdwa v38, v11, v114 dst_sel:DWORD dst_unused:UNUSED_PAD src0_sel:WORD_1 src1_sel:DWORD
	v_mul_f16_sdwa v43, v10, v115 dst_sel:DWORD dst_unused:UNUSED_PAD src0_sel:WORD_1 src1_sel:DWORD
	v_fma_f16 v37, v4, v28, v37
	v_fma_f16 v38, v11, v113, v38
	v_mul_f16_sdwa v41, v11, v113 dst_sel:DWORD dst_unused:UNUSED_PAD src0_sel:WORD_1 src1_sel:DWORD
	v_mul_f16_sdwa v28, v4, v28 dst_sel:DWORD dst_unused:UNUSED_PAD src0_sel:WORD_1 src1_sel:DWORD
	;; [unrolled: 1-line block ×3, first 2 shown]
	v_fma_f16 v43, v10, v16, v43
	v_mul_f16_sdwa v16, v10, v16 dst_sel:DWORD dst_unused:UNUSED_PAD src0_sel:WORD_1 src1_sel:DWORD
	v_sub_f16_e32 v39, v37, v38
	v_fma_f16 v11, v11, v114, -v41
	v_fma_f16 v4, v4, v151, -v28
	v_fma_f16 v42, v5, v33, v42
	v_fma_f16 v10, v10, v115, -v16
	v_mul_f16_sdwa v16, v5, v33 dst_sel:DWORD dst_unused:UNUSED_PAD src0_sel:WORD_1 src1_sel:DWORD
	v_mul_f16_e32 v40, 0xbbf1, v39
	v_add_f16_e32 v28, v11, v4
	v_sub_f16_e32 v44, v42, v43
	v_fma_f16 v5, v5, v148, -v16
	v_fma_f16 v41, v28, s12, v40
	v_mul_f16_e32 v45, 0xb3a8, v44
	v_add_f16_e32 v16, v10, v5
	v_add_f16_e32 v41, v78, v41
	v_fma_f16 v33, v16, s19, v45
	v_mul_f16_sdwa v46, v9, v153 dst_sel:DWORD dst_unused:UNUSED_PAD src0_sel:WORD_1 src1_sel:DWORD
	v_add_f16_e32 v33, v33, v41
	v_mul_f16_sdwa v41, v6, v149 dst_sel:DWORD dst_unused:UNUSED_PAD src0_sel:WORD_1 src1_sel:DWORD
	v_fma_f16 v46, v9, v15, v46
	v_mul_f16_sdwa v15, v9, v15 dst_sel:DWORD dst_unused:UNUSED_PAD src0_sel:WORD_1 src1_sel:DWORD
	v_fma_f16 v41, v6, v34, v41
	v_fma_f16 v9, v9, v153, -v15
	v_mul_f16_sdwa v15, v6, v34 dst_sel:DWORD dst_unused:UNUSED_PAD src0_sel:WORD_1 src1_sel:DWORD
	v_sub_f16_e32 v47, v41, v46
	v_fma_f16 v6, v6, v149, -v15
	v_mul_f16_e32 v48, 0x3b7b, v47
	v_add_f16_e32 v15, v9, v6
	v_fma_f16 v34, v15, s15, v48
	v_add_f16_e32 v33, v34, v33
	v_mul_f16_sdwa v34, v7, v146 dst_sel:DWORD dst_unused:UNUSED_PAD src0_sel:WORD_1 src1_sel:DWORD
	v_mul_f16_sdwa v79, v8, v152 dst_sel:DWORD dst_unused:UNUSED_PAD src0_sel:WORD_1 src1_sel:DWORD
	v_fma_f16 v34, v7, v29, v34
	v_fma_f16 v79, v8, v36, v79
	v_mul_f16_sdwa v36, v8, v36 dst_sel:DWORD dst_unused:UNUSED_PAD src0_sel:WORD_1 src1_sel:DWORD
	v_mul_f16_sdwa v29, v7, v29 dst_sel:DWORD dst_unused:UNUSED_PAD src0_sel:WORD_1 src1_sel:DWORD
	v_sub_f16_e32 v80, v34, v79
	v_fma_f16 v8, v8, v152, -v36
	v_fma_f16 v7, v7, v146, -v29
	v_mul_f16_e32 v81, 0x3770, v80
	v_add_f16_e32 v29, v8, v7
	v_fma_f16 v36, v29, s4, v81
	v_add_f16_e32 v33, v36, v33
	v_mul_f16_sdwa v36, v0, v145 dst_sel:DWORD dst_unused:UNUSED_PAD src0_sel:WORD_1 src1_sel:DWORD
	v_mul_f16_sdwa v82, v3, v150 dst_sel:DWORD dst_unused:UNUSED_PAD src0_sel:WORD_1 src1_sel:DWORD
	v_fma_f16 v36, v0, v30, v36
	v_fma_f16 v82, v3, v35, v82
	v_mul_f16_sdwa v35, v3, v35 dst_sel:DWORD dst_unused:UNUSED_PAD src0_sel:WORD_1 src1_sel:DWORD
	v_mul_f16_sdwa v30, v0, v30 dst_sel:DWORD dst_unused:UNUSED_PAD src0_sel:WORD_1 src1_sel:DWORD
	v_sub_f16_e32 v83, v36, v82
	v_fma_f16 v3, v3, v150, -v35
	;; [unrolled: 13-line block ×3, first 2 shown]
	v_fma_f16 v1, v1, v144, -v31
	v_mul_f16_e32 v87, 0xb94e, v86
	v_add_f16_e32 v31, v2, v1
	v_fma_f16 v32, v31, s17, v87
	v_sub_f16_e32 v88, v4, v11
	v_add_f16_e32 v32, v32, v33
	v_add_f16_e32 v33, v38, v37
	v_mul_f16_e32 v89, 0xbbf1, v88
	v_sub_f16_e32 v113, v5, v10
	v_fma_f16 v90, v33, s12, -v89
	v_add_f16_e32 v112, v43, v42
	v_mul_f16_e32 v114, 0xb3a8, v113
	v_add_f16_e32 v90, v27, v90
	v_fma_f16 v115, v112, s19, -v114
	v_sub_f16_e32 v138, v6, v9
	v_add_f16_e32 v90, v115, v90
	v_add_f16_e32 v115, v46, v41
	v_mul_f16_e32 v139, 0x3b7b, v138
	v_fma_f16 v140, v115, s15, -v139
	v_sub_f16_e32 v141, v7, v8
	v_add_f16_e32 v90, v140, v90
	v_add_f16_e32 v140, v79, v34
	v_mul_f16_e32 v142, 0x3770, v141
	;; [unrolled: 5-line block ×4, first 2 shown]
	v_fma_f16 v149, v146, s17, -v148
	v_add_f16_e32 v90, v149, v90
	v_mul_f16_e32 v149, 0xbb7b, v39
	v_fma_f16 v150, v28, s15, v149
	v_mul_f16_e32 v151, 0x394e, v44
	v_add_f16_e32 v150, v78, v150
	v_fma_f16 v152, v16, s17, v151
	v_add_f16_e32 v150, v152, v150
	v_mul_f16_e32 v152, 0x3770, v47
	v_fma_f16 v153, v15, s4, v152
	v_add_f16_e32 v150, v153, v150
	v_mul_f16_e32 v153, 0xbbf1, v80
	;; [unrolled: 3-line block ×5, first 2 shown]
	v_fma_f16 v157, v33, s15, -v156
	v_mul_f16_e32 v158, 0x394e, v113
	v_add_f16_e32 v157, v27, v157
	v_fma_f16 v159, v112, s17, -v158
	v_add_f16_e32 v157, v159, v157
	v_mul_f16_e32 v159, 0x3770, v138
	v_fma_f16 v160, v115, s4, -v159
	v_add_f16_e32 v157, v160, v157
	v_mul_f16_e32 v160, 0xbbf1, v141
	;; [unrolled: 3-line block ×4, first 2 shown]
	v_fma_f16 v40, v28, s12, -v40
	v_fma_f16 v163, v146, s6, -v162
	v_add_f16_e32 v40, v78, v40
	v_fma_f16 v45, v16, s19, -v45
	v_add_f16_e32 v157, v163, v157
	v_mul_f16_e32 v163, 0xb94e, v39
	v_add_f16_e32 v40, v45, v40
	v_fma_f16 v45, v15, s15, -v48
	v_fma_f16 v164, v28, s17, v163
	v_mul_f16_e32 v165, 0x3bf1, v44
	v_add_f16_e32 v40, v45, v40
	v_fma_f16 v45, v29, s4, -v81
	v_add_f16_e32 v164, v78, v164
	v_fma_f16 v166, v16, s12, v165
	v_add_f16_e32 v40, v45, v40
	v_fma_f16 v45, v30, s6, -v84
	v_add_f16_e32 v164, v166, v164
	v_mul_f16_e32 v166, 0xba95, v47
	v_add_f16_e32 v40, v45, v40
	v_fma_f16 v45, v31, s17, -v87
	v_fma_f16 v167, v15, s6, v166
	v_add_f16_e32 v40, v45, v40
	v_fma_f16 v45, v33, s12, v89
	v_add_f16_e32 v164, v167, v164
	v_mul_f16_e32 v167, 0x33a8, v80
	v_add_f16_e32 v45, v27, v45
	v_fma_f16 v48, v112, s19, v114
	v_fma_f16 v168, v29, s19, v167
	v_add_f16_e32 v45, v48, v45
	v_fma_f16 v48, v115, s15, v139
	v_add_f16_e32 v164, v168, v164
	v_mul_f16_e32 v168, 0x3770, v83
	v_add_f16_e32 v45, v48, v45
	v_fma_f16 v48, v140, s4, v142
	;; [unrolled: 7-line block ×3, first 2 shown]
	v_fma_f16 v170, v31, s15, v169
	v_add_f16_e32 v45, v48, v45
	v_mul_f16_e32 v48, 0x388b, v28
	v_add_f16_e32 v164, v170, v164
	v_mul_f16_e32 v170, 0xb94e, v88
	v_fma_f16 v149, v28, s15, -v149
	v_fma_f16 v81, v39, s23, v48
	v_mul_f16_e32 v84, 0xb5ac, v16
	v_fma_f16 v171, v33, s17, -v170
	v_mul_f16_e32 v172, 0x3bf1, v113
	v_add_f16_e32 v149, v78, v149
	v_fma_f16 v151, v16, s17, -v151
	v_add_f16_e32 v81, v78, v81
	v_fma_f16 v87, v44, s24, v84
	v_add_f16_e32 v171, v27, v171
	v_fma_f16 v173, v112, s12, -v172
	v_add_f16_e32 v149, v151, v149
	v_fma_f16 v151, v15, s4, -v152
	v_add_f16_e32 v81, v87, v81
	v_mul_f16_e32 v87, 0xbbc4, v15
	v_add_f16_e32 v171, v173, v171
	v_mul_f16_e32 v173, 0xba95, v138
	v_add_f16_e32 v149, v151, v149
	v_fma_f16 v151, v29, s12, -v153
	v_fma_f16 v89, v47, s25, v87
	v_fma_f16 v174, v115, s6, -v173
	v_add_f16_e32 v149, v151, v149
	v_fma_f16 v151, v30, s19, -v154
	v_add_f16_e32 v81, v89, v81
	v_mul_f16_e32 v89, 0xb9fd, v29
	v_add_f16_e32 v4, v4, v78
	v_add_f16_e32 v171, v174, v171
	v_mul_f16_e32 v174, 0x33a8, v141
	v_add_f16_e32 v149, v151, v149
	v_fma_f16 v151, v31, s6, -v155
	v_fma_f16 v114, v80, s18, v89
	v_add_f16_e32 v4, v5, v4
	v_fma_f16 v175, v140, s19, -v174
	v_add_f16_e32 v149, v151, v149
	v_fma_f16 v151, v33, s15, v156
	v_add_f16_e32 v81, v114, v81
	v_mul_f16_e32 v114, 0x2fb7, v30
	v_add_f16_e32 v4, v6, v4
	v_add_f16_e32 v171, v175, v171
	v_mul_f16_e32 v175, 0x3770, v144
	v_add_f16_e32 v151, v27, v151
	v_fma_f16 v152, v112, s17, v158
	v_fma_f16 v139, v83, s14, v114
	v_add_f16_e32 v4, v7, v4
	v_fma_f16 v176, v143, s4, -v175
	v_add_f16_e32 v151, v152, v151
	v_fma_f16 v152, v115, s4, v159
	v_add_f16_e32 v81, v139, v81
	v_mul_f16_e32 v139, 0x3b15, v31
	v_add_f16_e32 v0, v0, v4
	v_add_f16_e32 v171, v176, v171
	v_mul_f16_e32 v176, 0xbb7b, v147
	v_add_f16_e32 v151, v152, v151
	v_fma_f16 v152, v140, s12, v160
	v_fma_f16 v142, v86, s5, v139
	v_add_f16_e32 v0, v1, v0
	v_fma_f16 v1, v39, s7, v48
	v_fma_f16 v177, v146, s15, -v176
	v_add_f16_e32 v151, v152, v151
	v_fma_f16 v152, v143, s19, v161
	v_add_f16_e32 v81, v142, v81
	v_mul_f16_e32 v142, 0xba95, v88
	v_add_f16_e32 v0, v2, v0
	v_add_f16_e32 v1, v78, v1
	v_fma_f16 v2, v44, s16, v84
	v_add_f16_e32 v171, v177, v171
	v_mul_f16_e32 v177, 0xb3a8, v39
	v_add_f16_e32 v151, v152, v151
	v_fma_f16 v152, v146, s6, v162
	v_fma_f16 v145, v33, s6, v142
	v_mul_f16_e32 v148, 0xbb7b, v113
	v_add_f16_e32 v1, v2, v1
	v_fma_f16 v2, v47, s21, v87
	v_fma_f16 v178, v28, s19, v177
	v_mul_f16_e32 v179, 0x3770, v44
	v_add_f16_e32 v151, v152, v151
	v_add_f16_e32 v145, v27, v145
	v_fma_f16 v152, v112, s15, v148
	v_add_f16_e32 v1, v2, v1
	v_fma_f16 v2, v80, s22, v89
	;; [unrolled: 2-line block ×3, first 2 shown]
	v_add_f16_e32 v145, v152, v145
	v_mul_f16_e32 v152, 0xb3a8, v138
	v_add_f16_e32 v1, v2, v1
	v_fma_f16 v2, v83, s20, v114
	v_add_f16_e32 v178, v180, v178
	v_mul_f16_e32 v180, 0xb94e, v47
	v_fma_f16 v153, v115, s19, v152
	v_add_f16_e32 v1, v2, v1
	v_fma_f16 v2, v86, s13, v139
	v_fma_f16 v181, v15, s17, v180
	v_add_f16_e32 v145, v153, v145
	v_mul_f16_e32 v153, 0x394e, v141
	v_add_f16_e32 v1, v2, v1
	v_fma_f16 v2, v33, s6, -v142
	v_add_f16_e32 v178, v181, v178
	v_mul_f16_e32 v181, 0x3a95, v80
	v_fma_f16 v154, v140, s17, v153
	v_add_f16_e32 v0, v3, v0
	v_add_f16_e32 v2, v27, v2
	v_fma_f16 v3, v112, s15, -v148
	v_fma_f16 v182, v29, s6, v181
	v_add_f16_e32 v145, v154, v145
	v_mul_f16_e32 v154, 0x3bf1, v144
	v_add_f16_e32 v2, v3, v2
	v_fma_f16 v3, v115, s19, -v152
	v_add_f16_e32 v178, v182, v178
	v_mul_f16_e32 v182, 0xbb7b, v83
	v_fma_f16 v155, v143, s12, v154
	v_add_f16_e32 v2, v3, v2
	v_fma_f16 v3, v140, s17, -v153
	v_fma_f16 v183, v30, s15, v182
	v_add_f16_e32 v145, v155, v145
	v_mul_f16_e32 v155, 0x3770, v147
	v_add_f16_e32 v2, v3, v2
	v_fma_f16 v3, v143, s12, -v154
	v_add_f16_e32 v178, v183, v178
	v_mul_f16_e32 v183, 0x3bf1, v86
	v_fma_f16 v177, v28, s19, -v177
	v_fma_f16 v163, v28, s17, -v163
	v_mul_f16_e32 v28, 0x3b15, v28
	v_add_f16_e32 v2, v3, v2
	v_fma_f16 v3, v146, s4, -v155
	v_fma_f16 v184, v31, s12, v183
	v_add_f16_e32 v177, v78, v177
	v_fma_f16 v179, v16, s4, -v179
	v_add_f16_e32 v163, v78, v163
	v_fma_f16 v165, v16, s12, -v165
	v_fma_f16 v156, v146, s4, v155
	v_mul_f16_e32 v16, 0x388b, v16
	v_add_f16_e32 v2, v3, v2
	v_fma_f16 v3, v39, s5, v28
	v_add_f16_e32 v178, v184, v178
	v_mul_f16_e32 v184, 0xb3a8, v88
	v_add_f16_e32 v177, v179, v177
	v_fma_f16 v179, v15, s17, -v180
	v_add_f16_e32 v163, v165, v163
	v_fma_f16 v165, v15, s6, -v166
	v_add_f16_e32 v145, v156, v145
	v_fma_f16 v156, v39, s13, v28
	v_mul_f16_e32 v15, 0x2fb7, v15
	v_add_f16_e32 v3, v78, v3
	v_fma_f16 v4, v44, s7, v16
	v_fma_f16 v185, v33, s19, -v184
	v_mul_f16_e32 v186, 0x3770, v113
	v_add_f16_e32 v177, v179, v177
	v_fma_f16 v179, v29, s6, -v181
	v_add_f16_e32 v163, v165, v163
	v_fma_f16 v165, v29, s19, -v167
	v_add_f16_e32 v156, v78, v156
	v_fma_f16 v158, v44, s23, v16
	v_mul_f16_e32 v29, 0xb5ac, v29
	v_add_f16_e32 v37, v27, v37
	v_add_f16_e32 v3, v4, v3
	v_fma_f16 v4, v47, s14, v15
	v_add_f16_e32 v185, v27, v185
	v_fma_f16 v187, v112, s4, -v186
	v_add_f16_e32 v177, v179, v177
	v_fma_f16 v179, v30, s15, -v182
	;; [unrolled: 2-line block ×3, first 2 shown]
	v_add_f16_e32 v156, v158, v156
	v_fma_f16 v158, v47, s20, v15
	v_mul_f16_e32 v30, 0xb9fd, v30
	v_add_f16_e32 v37, v42, v37
	v_add_f16_e32 v3, v4, v3
	v_fma_f16 v4, v80, s16, v29
	v_add_f16_e32 v185, v187, v185
	v_mul_f16_e32 v187, 0xb94e, v138
	v_add_f16_e32 v177, v179, v177
	v_fma_f16 v179, v31, s12, -v183
	v_add_f16_e32 v163, v165, v163
	v_fma_f16 v165, v31, s15, -v169
	v_add_f16_e32 v156, v158, v156
	v_fma_f16 v158, v80, s24, v29
	v_mul_f16_e32 v31, 0xbbc4, v31
	v_add_f16_e32 v37, v41, v37
	v_add_f16_e32 v3, v4, v3
	v_fma_f16 v4, v83, s18, v30
	v_fma_f16 v188, v115, s17, -v187
	v_add_f16_e32 v156, v158, v156
	v_fma_f16 v158, v83, s22, v30
	v_mul_f16_e32 v88, 0xb770, v88
	v_add_f16_e32 v34, v34, v37
	v_add_f16_e32 v3, v4, v3
	v_fma_f16 v4, v86, s21, v31
	v_add_f16_e32 v185, v188, v185
	v_mul_f16_e32 v188, 0x3a95, v141
	v_add_f16_e32 v156, v158, v156
	v_fma_f16 v158, v86, s25, v31
	v_mul_f16_e32 v113, 0xba95, v113
	v_add_f16_e32 v34, v36, v34
	v_add_f16_e32 v3, v4, v3
	v_fma_f16 v4, v33, s4, -v88
	v_fma_f16 v189, v140, s6, -v188
	v_add_f16_e32 v156, v158, v156
	v_fma_f16 v158, v33, s4, v88
	v_mul_f16_e32 v138, 0xbbf1, v138
	v_add_f16_e32 v34, v35, v34
	v_add_f16_e32 v4, v27, v4
	v_fma_f16 v5, v112, s6, -v113
	v_add_f16_e32 v185, v189, v185
	v_mul_f16_e32 v189, 0xbb7b, v144
	v_add_f16_e32 v158, v27, v158
	v_fma_f16 v159, v112, s6, v113
	v_mul_f16_e32 v141, 0xbb7b, v141
	v_add_f16_e32 v34, v85, v34
	v_add_f16_e32 v4, v5, v4
	v_fma_f16 v5, v115, s12, -v138
	v_fma_f16 v190, v143, s15, -v189
	v_add_f16_e32 v163, v165, v163
	v_fma_f16 v165, v33, s17, v170
	v_add_f16_e32 v158, v159, v158
	v_fma_f16 v159, v115, s12, v138
	v_mul_f16_e32 v144, 0xb94e, v144
	v_add_f16_e32 v34, v82, v34
	v_add_f16_e32 v4, v5, v4
	v_fma_f16 v5, v140, s15, -v141
	v_add_f16_e32 v185, v190, v185
	v_mul_f16_e32 v190, 0x3bf1, v147
	v_add_f16_e32 v177, v179, v177
	v_fma_f16 v179, v33, s19, v184
	v_add_f16_e32 v165, v27, v165
	v_fma_f16 v166, v112, s12, v172
	;; [unrolled: 2-line block ×3, first 2 shown]
	v_mul_f16_e32 v147, 0xb3a8, v147
	v_add_f16_e32 v34, v79, v34
	v_add_f16_e32 v0, v8, v0
	;; [unrolled: 1-line block ×3, first 2 shown]
	v_fma_f16 v5, v143, s17, -v144
	v_add_f16_e32 v179, v27, v179
	v_fma_f16 v180, v112, s4, v186
	v_add_f16_e32 v165, v166, v165
	v_fma_f16 v166, v115, s6, v173
	;; [unrolled: 2-line block ×3, first 2 shown]
	v_add_f16_e32 v34, v46, v34
	v_add_f16_e32 v0, v9, v0
	;; [unrolled: 1-line block ×3, first 2 shown]
	v_fma_f16 v5, v146, s19, -v147
	v_add_f16_e32 v179, v180, v179
	v_fma_f16 v180, v115, s17, v187
	v_add_f16_e32 v165, v166, v165
	v_fma_f16 v166, v140, s19, v174
	;; [unrolled: 2-line block ×3, first 2 shown]
	v_add_f16_e32 v34, v43, v34
	v_add_f16_e32 v0, v10, v0
	;; [unrolled: 1-line block ×3, first 2 shown]
	v_mul_u32_u24_e32 v5, 52, v77
	v_add_f16_e32 v179, v180, v179
	v_fma_f16 v180, v140, s6, v188
	v_add_f16_e32 v165, v166, v165
	v_fma_f16 v166, v143, s4, v175
	v_add_f16_e32 v158, v159, v158
	v_add_f16_e32 v34, v38, v34
	;; [unrolled: 1-line block ×3, first 2 shown]
	v_or_b32_e32 v5, v5, v76
	v_add_f16_e32 v179, v180, v179
	v_fma_f16 v180, v143, s15, v189
	v_add_f16_e32 v165, v166, v165
	v_fma_f16 v166, v146, s15, v176
	v_lshlrev_b32_e32 v5, 2, v5
	v_pack_b32_f16 v0, v34, v0
	v_pack_b32_f16 v6, v158, v156
	v_fma_f16 v191, v146, s12, -v190
	v_add_f16_e32 v179, v180, v179
	v_fma_f16 v180, v146, s12, v190
	v_add_f16_e32 v165, v166, v165
	ds_write2_b32 v5, v0, v6 offset1:4
	v_pack_b32_f16 v0, v145, v81
	v_pack_b32_f16 v6, v45, v40
	v_add_f16_e32 v185, v191, v185
	v_add_f16_e32 v179, v180, v179
	ds_write2_b32 v5, v0, v6 offset0:8 offset1:12
	v_pack_b32_f16 v0, v151, v149
	v_pack_b32_f16 v6, v165, v163
	ds_write2_b32 v5, v0, v6 offset0:16 offset1:20
	v_pack_b32_f16 v0, v179, v177
	v_pack_b32_f16 v6, v185, v178
	;; [unrolled: 3-line block ×4, first 2 shown]
	ds_write2_b32 v5, v0, v1 offset0:40 offset1:44
	v_pack_b32_f16 v0, v4, v3
	ds_write_b32 v5, v0 offset:192
.LBB0_9:
	s_or_b64 exec, exec, s[0:1]
	v_add_u32_e32 v1, 0x800, v69
	s_waitcnt lgkmcnt(0)
	; wave barrier
	s_waitcnt lgkmcnt(0)
	ds_read2_b32 v[9:10], v1 offset0:112 offset1:164
	v_add_u32_e32 v6, 0xa00, v69
	ds_read2_b32 v[27:28], v6 offset0:88 offset1:140
	v_add_u32_e32 v4, 0xc00, v69
	ds_read2_b32 v[31:32], v4 offset0:64 offset1:116
	s_waitcnt lgkmcnt(2)
	v_lshrrev_b32_e32 v11, 16, v9
	v_mul_f16_sdwa v115, v101, v11 dst_sel:DWORD dst_unused:UNUSED_PAD src0_sel:WORD_1 src1_sel:DWORD
	v_lshrrev_b32_e32 v46, 16, v10
	v_fma_f16 v115, v101, v9, v115
	v_mul_f16_sdwa v9, v101, v9 dst_sel:DWORD dst_unused:UNUSED_PAD src0_sel:WORD_1 src1_sel:DWORD
	v_fma_f16 v9, v101, v11, -v9
	v_mul_f16_sdwa v11, v101, v46 dst_sel:DWORD dst_unused:UNUSED_PAD src0_sel:WORD_1 src1_sel:DWORD
	s_waitcnt lgkmcnt(1)
	v_lshrrev_b32_e32 v48, 16, v27
	v_fma_f16 v11, v101, v10, v11
	v_mul_f16_sdwa v10, v101, v10 dst_sel:DWORD dst_unused:UNUSED_PAD src0_sel:WORD_1 src1_sel:DWORD
	v_fma_f16 v10, v101, v46, -v10
	v_mul_f16_sdwa v46, v102, v48 dst_sel:DWORD dst_unused:UNUSED_PAD src0_sel:WORD_1 src1_sel:DWORD
	v_add_u32_e32 v5, 0x200, v69
	v_lshrrev_b32_e32 v77, 16, v28
	v_add_u32_e32 v2, 0x400, v69
	v_fma_f16 v46, v102, v27, v46
	v_mul_f16_sdwa v27, v102, v27 dst_sel:DWORD dst_unused:UNUSED_PAD src0_sel:WORD_1 src1_sel:DWORD
	ds_read2_b32 v[7:8], v69 offset1:52
	ds_read2_b32 v[15:16], v69 offset0:104 offset1:156
	ds_read2_b32 v[29:30], v5 offset0:80 offset1:132
	;; [unrolled: 1-line block ×4, first 2 shown]
	v_fma_f16 v27, v102, v48, -v27
	v_mul_f16_sdwa v48, v103, v77 dst_sel:DWORD dst_unused:UNUSED_PAD src0_sel:WORD_1 src1_sel:DWORD
	s_waitcnt lgkmcnt(5)
	v_lshrrev_b32_e32 v79, 16, v31
	v_fma_f16 v48, v103, v28, v48
	v_mul_f16_sdwa v28, v103, v28 dst_sel:DWORD dst_unused:UNUSED_PAD src0_sel:WORD_1 src1_sel:DWORD
	v_fma_f16 v28, v103, v77, -v28
	v_mul_f16_sdwa v77, v104, v79 dst_sel:DWORD dst_unused:UNUSED_PAD src0_sel:WORD_1 src1_sel:DWORD
	v_lshrrev_b32_e32 v81, 16, v32
	v_add_u32_e32 v0, 0x1000, v69
	v_fma_f16 v77, v104, v31, v77
	v_mul_f16_sdwa v31, v104, v31 dst_sel:DWORD dst_unused:UNUSED_PAD src0_sel:WORD_1 src1_sel:DWORD
	ds_read2_b32 v[39:40], v0 offset0:16 offset1:68
	v_fma_f16 v31, v104, v79, -v31
	v_mul_f16_sdwa v79, v105, v81 dst_sel:DWORD dst_unused:UNUSED_PAD src0_sel:WORD_1 src1_sel:DWORD
	s_waitcnt lgkmcnt(1)
	v_lshrrev_b32_e32 v83, 16, v35
	v_fma_f16 v79, v105, v32, v79
	v_mul_f16_sdwa v32, v105, v32 dst_sel:DWORD dst_unused:UNUSED_PAD src0_sel:WORD_1 src1_sel:DWORD
	v_lshrrev_b32_e32 v3, 16, v7
	v_fma_f16 v32, v105, v81, -v32
	v_mul_f16_sdwa v81, v106, v83 dst_sel:DWORD dst_unused:UNUSED_PAD src0_sel:WORD_1 src1_sel:DWORD
	v_lshrrev_b32_e32 v45, 16, v8
	v_lshrrev_b32_e32 v85, 16, v36
	v_fma_f16 v81, v106, v35, v81
	v_mul_f16_sdwa v35, v106, v35 dst_sel:DWORD dst_unused:UNUSED_PAD src0_sel:WORD_1 src1_sel:DWORD
	v_sub_f16_e32 v102, v7, v115
	v_sub_f16_e32 v9, v3, v9
	v_lshrrev_b32_e32 v47, 16, v15
	ds_read2_b32 v[37:38], v2 offset0:160 offset1:212
	ds_read2_b32 v[41:42], v1 offset0:8 offset1:60
	;; [unrolled: 1-line block ×3, first 2 shown]
	v_fma_f16 v35, v106, v83, -v35
	v_mul_f16_sdwa v83, v109, v85 dst_sel:DWORD dst_unused:UNUSED_PAD src0_sel:WORD_1 src1_sel:DWORD
	v_fma_f16 v7, v7, 2.0, -v102
	v_fma_f16 v3, v3, 2.0, -v9
	v_sub_f16_e32 v11, v8, v11
	v_sub_f16_e32 v10, v45, v10
	v_lshrrev_b32_e32 v76, 16, v16
	s_waitcnt lgkmcnt(3)
	v_lshrrev_b32_e32 v87, 16, v39
	v_fma_f16 v83, v109, v36, v83
	v_mul_f16_sdwa v36, v109, v36 dst_sel:DWORD dst_unused:UNUSED_PAD src0_sel:WORD_1 src1_sel:DWORD
	v_fma_f16 v8, v8, 2.0, -v11
	v_fma_f16 v45, v45, 2.0, -v10
	v_sub_f16_e32 v46, v15, v46
	v_sub_f16_e32 v27, v47, v27
	v_pack_b32_f16 v3, v7, v3
	v_pack_b32_f16 v7, v102, v9
	v_lshrrev_b32_e32 v78, 16, v29
	v_fma_f16 v36, v109, v85, -v36
	v_mul_f16_sdwa v85, v108, v87 dst_sel:DWORD dst_unused:UNUSED_PAD src0_sel:WORD_1 src1_sel:DWORD
	v_fma_f16 v15, v15, 2.0, -v46
	v_fma_f16 v47, v47, 2.0, -v27
	v_sub_f16_e32 v48, v16, v48
	v_sub_f16_e32 v28, v76, v28
	s_waitcnt lgkmcnt(0)
	; wave barrier
	s_waitcnt lgkmcnt(0)
	ds_write2_b32 v69, v3, v7 offset1:52
	v_pack_b32_f16 v3, v8, v45
	v_pack_b32_f16 v7, v11, v10
	v_lshrrev_b32_e32 v80, 16, v30
	v_lshrrev_b32_e32 v89, 16, v40
	v_fma_f16 v85, v108, v39, v85
	v_mul_f16_sdwa v39, v108, v39 dst_sel:DWORD dst_unused:UNUSED_PAD src0_sel:WORD_1 src1_sel:DWORD
	v_fma_f16 v16, v16, 2.0, -v48
	v_fma_f16 v76, v76, 2.0, -v28
	v_sub_f16_e32 v77, v29, v77
	v_sub_f16_e32 v31, v78, v31
	ds_write2_b32 v69, v3, v7 offset0:104 offset1:156
	v_pack_b32_f16 v3, v15, v47
	v_pack_b32_f16 v7, v46, v27
	v_add_u32_e32 v8, 0x200, v91
	v_lshrrev_b32_e32 v82, 16, v33
	v_fma_f16 v39, v108, v87, -v39
	v_mul_f16_sdwa v87, v107, v89 dst_sel:DWORD dst_unused:UNUSED_PAD src0_sel:WORD_1 src1_sel:DWORD
	v_fma_f16 v29, v29, 2.0, -v77
	v_fma_f16 v78, v78, 2.0, -v31
	v_sub_f16_e32 v79, v30, v79
	v_sub_f16_e32 v32, v80, v32
	ds_write2_b32 v8, v3, v7 offset0:80 offset1:132
	v_pack_b32_f16 v3, v16, v76
	v_pack_b32_f16 v7, v48, v28
	v_add_u32_e32 v8, 0x400, v92
	v_lshrrev_b32_e32 v84, 16, v34
	v_lshrrev_b32_e32 v112, 16, v43
	v_fma_f16 v87, v107, v40, v87
	v_mul_f16_sdwa v40, v107, v40 dst_sel:DWORD dst_unused:UNUSED_PAD src0_sel:WORD_1 src1_sel:DWORD
	v_fma_f16 v30, v30, 2.0, -v79
	v_fma_f16 v80, v80, 2.0, -v32
	v_sub_f16_e32 v81, v33, v81
	v_sub_f16_e32 v35, v82, v35
	ds_write2_b32 v8, v3, v7 offset0:56 offset1:108
	v_pack_b32_f16 v3, v29, v78
	v_pack_b32_f16 v7, v77, v31
	v_add_u32_e32 v8, 0x400, v93
	v_lshrrev_b32_e32 v86, 16, v37
	v_lshrrev_b32_e32 v114, 16, v44
	v_fma_f16 v40, v107, v89, -v40
	v_mul_f16_sdwa v89, v110, v112 dst_sel:DWORD dst_unused:UNUSED_PAD src0_sel:WORD_1 src1_sel:DWORD
	v_fma_f16 v33, v33, 2.0, -v81
	v_fma_f16 v82, v82, 2.0, -v35
	v_sub_f16_e32 v83, v34, v83
	v_sub_f16_e32 v36, v84, v36
	ds_write2_b32 v8, v3, v7 offset0:160 offset1:212
	v_pack_b32_f16 v3, v30, v80
	v_pack_b32_f16 v7, v79, v32
	v_add_u32_e32 v8, 0x800, v94
	v_lshrrev_b32_e32 v88, 16, v38
	v_fma_f16 v89, v110, v43, v89
	v_mul_f16_sdwa v43, v110, v43 dst_sel:DWORD dst_unused:UNUSED_PAD src0_sel:WORD_1 src1_sel:DWORD
	v_mul_f16_sdwa v101, v111, v114 dst_sel:DWORD dst_unused:UNUSED_PAD src0_sel:WORD_1 src1_sel:DWORD
	v_fma_f16 v34, v34, 2.0, -v83
	v_fma_f16 v84, v84, 2.0, -v36
	v_sub_f16_e32 v85, v37, v85
	v_sub_f16_e32 v39, v86, v39
	ds_write2_b32 v8, v3, v7 offset0:8 offset1:60
	v_pack_b32_f16 v3, v33, v82
	v_pack_b32_f16 v7, v81, v35
	v_add_u32_e32 v8, 0x800, v95
	v_lshrrev_b32_e32 v90, 16, v41
	v_fma_f16 v43, v110, v112, -v43
	v_fma_f16 v101, v111, v44, v101
	v_mul_f16_sdwa v44, v111, v44 dst_sel:DWORD dst_unused:UNUSED_PAD src0_sel:WORD_1 src1_sel:DWORD
	v_fma_f16 v37, v37, 2.0, -v85
	v_fma_f16 v86, v86, 2.0, -v39
	v_sub_f16_e32 v87, v38, v87
	v_sub_f16_e32 v40, v88, v40
	ds_write2_b32 v8, v3, v7 offset0:112 offset1:164
	v_pack_b32_f16 v3, v34, v84
	v_pack_b32_f16 v7, v83, v36
	v_add_u32_e32 v8, 0xa00, v96
	v_lshrrev_b32_e32 v113, 16, v42
	v_fma_f16 v44, v111, v114, -v44
	v_fma_f16 v38, v38, 2.0, -v87
	v_fma_f16 v88, v88, 2.0, -v40
	v_sub_f16_e32 v89, v41, v89
	v_sub_f16_e32 v43, v90, v43
	ds_write2_b32 v8, v3, v7 offset0:88 offset1:140
	v_pack_b32_f16 v3, v37, v86
	v_pack_b32_f16 v7, v85, v39
	v_add_u32_e32 v8, 0xc00, v97
	v_fma_f16 v41, v41, 2.0, -v89
	v_fma_f16 v90, v90, 2.0, -v43
	v_sub_f16_e32 v101, v42, v101
	v_sub_f16_e32 v44, v113, v44
	ds_write2_b32 v8, v3, v7 offset0:64 offset1:116
	v_pack_b32_f16 v3, v38, v88
	v_pack_b32_f16 v7, v87, v40
	v_add_u32_e32 v8, 0xc00, v98
	v_fma_f16 v42, v42, 2.0, -v101
	v_fma_f16 v103, v113, 2.0, -v44
	ds_write2_b32 v8, v3, v7 offset0:168 offset1:220
	v_pack_b32_f16 v3, v41, v90
	v_pack_b32_f16 v7, v89, v43
	v_add_u32_e32 v8, 0x1000, v99
	ds_write2_b32 v8, v3, v7 offset0:16 offset1:68
	v_pack_b32_f16 v3, v42, v103
	v_pack_b32_f16 v7, v101, v44
	v_add_u32_e32 v8, 0x1000, v100
	ds_write2_b32 v8, v3, v7 offset0:120 offset1:172
	s_waitcnt lgkmcnt(0)
	; wave barrier
	s_waitcnt lgkmcnt(0)
	ds_read2_b32 v[7:8], v69 offset1:52
	ds_read2_b32 v[9:10], v2 offset0:160 offset1:212
	ds_read2_b32 v[15:16], v4 offset0:64 offset1:116
	;; [unrolled: 1-line block ×11, first 2 shown]
	s_waitcnt lgkmcnt(10)
	v_lshrrev_b32_e32 v11, 16, v9
	v_mul_f16_sdwa v94, v13, v11 dst_sel:DWORD dst_unused:UNUSED_PAD src0_sel:WORD_1 src1_sel:DWORD
	s_waitcnt lgkmcnt(9)
	v_lshrrev_b32_e32 v45, 16, v15
	v_fma_f16 v94, v13, v9, v94
	v_mul_f16_sdwa v9, v13, v9 dst_sel:DWORD dst_unused:UNUSED_PAD src0_sel:WORD_1 src1_sel:DWORD
	v_fma_f16 v9, v13, v11, -v9
	v_mul_f16_sdwa v11, v14, v45 dst_sel:DWORD dst_unused:UNUSED_PAD src0_sel:WORD_1 src1_sel:DWORD
	v_lshrrev_b32_e32 v47, 16, v10
	v_fma_f16 v11, v14, v15, v11
	v_mul_f16_sdwa v15, v14, v15 dst_sel:DWORD dst_unused:UNUSED_PAD src0_sel:WORD_1 src1_sel:DWORD
	v_fma_f16 v15, v14, v45, -v15
	v_mul_f16_sdwa v45, v21, v47 dst_sel:DWORD dst_unused:UNUSED_PAD src0_sel:WORD_1 src1_sel:DWORD
	v_lshrrev_b32_e32 v48, 16, v16
	v_fma_f16 v45, v21, v10, v45
	v_mul_f16_sdwa v10, v21, v10 dst_sel:DWORD dst_unused:UNUSED_PAD src0_sel:WORD_1 src1_sel:DWORD
	v_fma_f16 v10, v21, v47, -v10
	v_mul_f16_sdwa v47, v22, v48 dst_sel:DWORD dst_unused:UNUSED_PAD src0_sel:WORD_1 src1_sel:DWORD
	s_waitcnt lgkmcnt(7)
	v_lshrrev_b32_e32 v77, 16, v29
	v_fma_f16 v47, v22, v16, v47
	v_mul_f16_sdwa v16, v22, v16 dst_sel:DWORD dst_unused:UNUSED_PAD src0_sel:WORD_1 src1_sel:DWORD
	v_fma_f16 v16, v22, v48, -v16
	v_mul_f16_sdwa v48, v13, v77 dst_sel:DWORD dst_unused:UNUSED_PAD src0_sel:WORD_1 src1_sel:DWORD
	s_waitcnt lgkmcnt(6)
	v_lshrrev_b32_e32 v78, 16, v31
	v_fma_f16 v48, v13, v29, v48
	v_mul_f16_sdwa v29, v13, v29 dst_sel:DWORD dst_unused:UNUSED_PAD src0_sel:WORD_1 src1_sel:DWORD
	v_fma_f16 v13, v13, v77, -v29
	v_mul_f16_sdwa v29, v14, v78 dst_sel:DWORD dst_unused:UNUSED_PAD src0_sel:WORD_1 src1_sel:DWORD
	v_lshrrev_b32_e32 v80, 16, v30
	v_fma_f16 v29, v14, v31, v29
	v_mul_f16_sdwa v31, v14, v31 dst_sel:DWORD dst_unused:UNUSED_PAD src0_sel:WORD_1 src1_sel:DWORD
	v_fma_f16 v14, v14, v78, -v31
	v_mul_f16_sdwa v31, v21, v80 dst_sel:DWORD dst_unused:UNUSED_PAD src0_sel:WORD_1 src1_sel:DWORD
	v_lshrrev_b32_e32 v81, 16, v32
	v_fma_f16 v31, v21, v30, v31
	v_mul_f16_sdwa v30, v21, v30 dst_sel:DWORD dst_unused:UNUSED_PAD src0_sel:WORD_1 src1_sel:DWORD
	v_fma_f16 v21, v21, v80, -v30
	v_mul_f16_sdwa v30, v22, v81 dst_sel:DWORD dst_unused:UNUSED_PAD src0_sel:WORD_1 src1_sel:DWORD
	s_waitcnt lgkmcnt(4)
	v_lshrrev_b32_e32 v83, 16, v35
	v_fma_f16 v30, v22, v32, v30
	v_mul_f16_sdwa v32, v22, v32 dst_sel:DWORD dst_unused:UNUSED_PAD src0_sel:WORD_1 src1_sel:DWORD
	v_fma_f16 v22, v22, v81, -v32
	;; [unrolled: 22-line block ×3, first 2 shown]
	v_mul_f16_sdwa v38, v23, v89 dst_sel:DWORD dst_unused:UNUSED_PAD src0_sel:WORD_1 src1_sel:DWORD
	s_waitcnt lgkmcnt(0)
	v_lshrrev_b32_e32 v90, 16, v43
	v_fma_f16 v38, v23, v41, v38
	v_mul_f16_sdwa v41, v23, v41 dst_sel:DWORD dst_unused:UNUSED_PAD src0_sel:WORD_1 src1_sel:DWORD
	v_fma_f16 v23, v23, v89, -v41
	v_mul_f16_sdwa v41, v24, v90 dst_sel:DWORD dst_unused:UNUSED_PAD src0_sel:WORD_1 src1_sel:DWORD
	v_lshrrev_b32_e32 v92, 16, v42
	v_fma_f16 v41, v24, v43, v41
	v_mul_f16_sdwa v43, v24, v43 dst_sel:DWORD dst_unused:UNUSED_PAD src0_sel:WORD_1 src1_sel:DWORD
	v_fma_f16 v24, v24, v90, -v43
	v_mul_f16_sdwa v43, v25, v92 dst_sel:DWORD dst_unused:UNUSED_PAD src0_sel:WORD_1 src1_sel:DWORD
	;; [unrolled: 5-line block ×3, first 2 shown]
	v_fma_f16 v42, v26, v44, v42
	v_mul_f16_sdwa v44, v26, v44 dst_sel:DWORD dst_unused:UNUSED_PAD src0_sel:WORD_1 src1_sel:DWORD
	v_add_f16_e32 v77, v94, v11
	v_lshrrev_b32_e32 v3, 16, v7
	v_fma_f16 v26, v26, v93, -v44
	v_add_f16_e32 v44, v7, v94
	v_fma_f16 v7, v77, -0.5, v7
	v_sub_f16_e32 v77, v9, v15
	s_mov_b32 s0, 0xbaee
	s_movk_i32 s1, 0x3aee
	v_fma_f16 v78, v77, s0, v7
	v_fma_f16 v7, v77, s1, v7
	v_add_f16_e32 v77, v3, v9
	v_add_f16_e32 v9, v9, v15
	;; [unrolled: 1-line block ×3, first 2 shown]
	v_fma_f16 v3, v9, -0.5, v3
	v_sub_f16_e32 v9, v94, v11
	v_add_f16_e32 v15, v45, v47
	v_lshrrev_b32_e32 v46, 16, v8
	v_add_f16_e32 v44, v44, v11
	v_fma_f16 v11, v9, s1, v3
	v_fma_f16 v3, v9, s0, v3
	v_add_f16_e32 v9, v8, v45
	v_fma_f16 v8, v15, -0.5, v8
	v_sub_f16_e32 v15, v10, v16
	v_fma_f16 v80, v15, s0, v8
	v_fma_f16 v8, v15, s1, v8
	v_add_f16_e32 v15, v46, v10
	v_add_f16_e32 v10, v10, v16
	;; [unrolled: 1-line block ×3, first 2 shown]
	v_fma_f16 v10, v10, -0.5, v46
	v_sub_f16_e32 v16, v45, v47
	v_add_f16_e32 v46, v48, v29
	v_lshrrev_b32_e32 v76, 16, v27
	v_fma_f16 v45, v16, s1, v10
	v_fma_f16 v10, v16, s0, v10
	v_add_f16_e32 v16, v27, v48
	v_fma_f16 v27, v46, -0.5, v27
	v_sub_f16_e32 v46, v13, v14
	v_add_f16_e32 v9, v9, v47
	v_fma_f16 v47, v46, s0, v27
	v_fma_f16 v27, v46, s1, v27
	v_add_f16_e32 v46, v76, v13
	v_add_f16_e32 v13, v13, v14
	;; [unrolled: 1-line block ×3, first 2 shown]
	v_fma_f16 v13, v13, -0.5, v76
	v_sub_f16_e32 v14, v48, v29
	v_add_f16_e32 v48, v31, v30
	v_lshrrev_b32_e32 v79, 16, v28
	v_add_f16_e32 v16, v16, v29
	v_fma_f16 v29, v14, s1, v13
	v_fma_f16 v13, v14, s0, v13
	v_add_f16_e32 v14, v28, v31
	v_fma_f16 v28, v48, -0.5, v28
	v_sub_f16_e32 v48, v21, v22
	v_fma_f16 v76, v48, s0, v28
	v_fma_f16 v28, v48, s1, v28
	v_add_f16_e32 v48, v79, v21
	v_add_f16_e32 v21, v21, v22
	;; [unrolled: 1-line block ×3, first 2 shown]
	v_fma_f16 v21, v21, -0.5, v79
	v_sub_f16_e32 v22, v31, v30
	v_add_f16_e32 v31, v32, v35
	v_lshrrev_b32_e32 v82, 16, v33
	v_add_f16_e32 v14, v14, v30
	v_fma_f16 v30, v22, s1, v21
	v_fma_f16 v21, v22, s0, v21
	v_add_f16_e32 v22, v33, v32
	v_fma_f16 v31, v31, -0.5, v33
	v_sub_f16_e32 v33, v19, v20
	v_fma_f16 v79, v33, s0, v31
	v_fma_f16 v31, v33, s1, v31
	v_add_f16_e32 v33, v82, v19
	v_add_f16_e32 v19, v19, v20
	v_add_f16_e32 v22, v22, v35
	v_add_f16_e32 v33, v33, v20
	v_fma_f16 v19, v19, -0.5, v82
	v_sub_f16_e32 v20, v32, v35
	v_add_f16_e32 v35, v37, v36
	v_lshrrev_b32_e32 v85, 16, v34
	v_fma_f16 v32, v20, s1, v19
	v_fma_f16 v19, v20, s0, v19
	v_add_f16_e32 v20, v34, v37
	v_fma_f16 v34, v35, -0.5, v34
	v_sub_f16_e32 v35, v17, v18
	v_fma_f16 v81, v35, s0, v34
	v_fma_f16 v34, v35, s1, v34
	v_add_f16_e32 v35, v85, v17
	v_add_f16_e32 v17, v17, v18
	;; [unrolled: 1-line block ×3, first 2 shown]
	v_fma_f16 v17, v17, -0.5, v85
	v_sub_f16_e32 v18, v37, v36
	v_add_f16_e32 v37, v38, v41
	v_lshrrev_b32_e32 v88, 16, v39
	v_add_f16_e32 v20, v20, v36
	v_fma_f16 v36, v18, s1, v17
	v_fma_f16 v17, v18, s0, v17
	v_add_f16_e32 v18, v39, v38
	v_fma_f16 v37, v37, -0.5, v39
	v_sub_f16_e32 v39, v23, v24
	v_fma_f16 v82, v39, s0, v37
	v_fma_f16 v37, v39, s1, v37
	v_add_f16_e32 v39, v88, v23
	v_add_f16_e32 v23, v23, v24
	;; [unrolled: 1-line block ×4, first 2 shown]
	v_fma_f16 v23, v23, -0.5, v88
	v_sub_f16_e32 v24, v38, v41
	v_add_f16_e32 v41, v43, v42
	v_lshrrev_b32_e32 v91, 16, v40
	v_fma_f16 v38, v24, s1, v23
	v_fma_f16 v23, v24, s0, v23
	v_add_f16_e32 v24, v40, v43
	v_fma_f16 v40, v41, -0.5, v40
	v_sub_f16_e32 v41, v25, v26
	v_fma_f16 v83, v41, s0, v40
	v_fma_f16 v40, v41, s1, v40
	v_add_f16_e32 v41, v91, v25
	v_add_f16_e32 v25, v25, v26
	;; [unrolled: 1-line block ×3, first 2 shown]
	v_fma_f16 v25, v25, -0.5, v91
	v_sub_f16_e32 v26, v43, v42
	v_pack_b32_f16 v3, v7, v3
	v_add_f16_e32 v24, v24, v42
	v_fma_f16 v42, v26, s1, v25
	v_fma_f16 v25, v26, s0, v25
	s_waitcnt lgkmcnt(0)
	; wave barrier
	v_pack_b32_f16 v26, v44, v77
	v_pack_b32_f16 v11, v78, v11
	ds_write_b32 v69, v3 offset:832
	v_pack_b32_f16 v3, v9, v15
	ds_write_b32 v69, v11 offset:416
	ds_write2_b32 v69, v26, v3 offset1:52
	v_pack_b32_f16 v3, v80, v45
	ds_write_b32 v69, v3 offset:624
	v_pack_b32_f16 v3, v8, v10
	v_pack_b32_f16 v7, v16, v46
	ds_write2_b32 v2, v3, v7 offset0:4 offset1:56
	v_pack_b32_f16 v3, v47, v29
	v_pack_b32_f16 v8, v14, v48
	;; [unrolled: 1-line block ×3, first 2 shown]
	ds_write2_b32 v2, v8, v3 offset0:108 offset1:160
	v_pack_b32_f16 v3, v76, v30
	v_add_u32_e32 v11, 0x600, v69
	ds_write2_b32 v11, v3, v7 offset0:84 offset1:136
	v_pack_b32_f16 v3, v28, v21
	ds_write_b32 v69, v3 offset:2288
	v_pack_b32_f16 v3, v22, v33
	v_pack_b32_f16 v7, v79, v32
	v_add_u32_e32 v8, 0x800, v122
	ds_write2_b32 v8, v3, v7 offset0:112 offset1:216
	v_pack_b32_f16 v3, v31, v19
	ds_write_b32 v122, v3 offset:3328
	v_pack_b32_f16 v3, v20, v35
	;; [unrolled: 6-line block ×4, first 2 shown]
	v_pack_b32_f16 v7, v83, v42
	v_add_u32_e32 v8, 0xe00, v125
	ds_write2_b32 v8, v3, v7 offset0:40 offset1:144
	v_pack_b32_f16 v3, v40, v25
	ds_write_b32 v125, v3 offset:4576
	s_waitcnt lgkmcnt(0)
	; wave barrier
	s_waitcnt lgkmcnt(0)
	ds_read2_b32 v[7:8], v69 offset1:52
	ds_read2_b32 v[9:10], v1 offset0:112 offset1:164
	ds_read2_b32 v[15:16], v6 offset0:88 offset1:140
	;; [unrolled: 1-line block ×5, first 2 shown]
	s_waitcnt lgkmcnt(4)
	v_lshrrev_b32_e32 v33, 16, v9
	v_mul_f16_sdwa v83, v116, v33 dst_sel:DWORD dst_unused:UNUSED_PAD src0_sel:WORD_1 src1_sel:DWORD
	v_lshrrev_b32_e32 v35, 16, v10
	v_fma_f16 v83, v116, v9, v83
	v_mul_f16_sdwa v9, v116, v9 dst_sel:DWORD dst_unused:UNUSED_PAD src0_sel:WORD_1 src1_sel:DWORD
	v_fma_f16 v9, v116, v33, -v9
	v_mul_f16_sdwa v33, v117, v35 dst_sel:DWORD dst_unused:UNUSED_PAD src0_sel:WORD_1 src1_sel:DWORD
	s_waitcnt lgkmcnt(3)
	v_lshrrev_b32_e32 v37, 16, v15
	v_fma_f16 v33, v117, v10, v33
	v_mul_f16_sdwa v10, v117, v10 dst_sel:DWORD dst_unused:UNUSED_PAD src0_sel:WORD_1 src1_sel:DWORD
	v_fma_f16 v10, v117, v35, -v10
	v_mul_f16_sdwa v35, v118, v37 dst_sel:DWORD dst_unused:UNUSED_PAD src0_sel:WORD_1 src1_sel:DWORD
	v_lshrrev_b32_e32 v39, 16, v16
	v_fma_f16 v35, v118, v15, v35
	v_mul_f16_sdwa v15, v118, v15 dst_sel:DWORD dst_unused:UNUSED_PAD src0_sel:WORD_1 src1_sel:DWORD
	v_fma_f16 v15, v118, v37, -v15
	v_mul_f16_sdwa v37, v119, v39 dst_sel:DWORD dst_unused:UNUSED_PAD src0_sel:WORD_1 src1_sel:DWORD
	s_waitcnt lgkmcnt(2)
	v_lshrrev_b32_e32 v41, 16, v19
	v_fma_f16 v37, v119, v16, v37
	v_mul_f16_sdwa v16, v119, v16 dst_sel:DWORD dst_unused:UNUSED_PAD src0_sel:WORD_1 src1_sel:DWORD
	v_fma_f16 v16, v119, v39, -v16
	;; [unrolled: 11-line block ×3, first 2 shown]
	v_mul_f16_sdwa v43, v116, v45 dst_sel:DWORD dst_unused:UNUSED_PAD src0_sel:WORD_1 src1_sel:DWORD
	v_lshrrev_b32_e32 v47, 16, v24
	v_fma_f16 v43, v116, v23, v43
	v_mul_f16_sdwa v23, v116, v23 dst_sel:DWORD dst_unused:UNUSED_PAD src0_sel:WORD_1 src1_sel:DWORD
	ds_read2_b32 v[13:14], v69 offset0:104 offset1:156
	ds_read2_b32 v[17:18], v5 offset0:80 offset1:132
	;; [unrolled: 1-line block ×6, first 2 shown]
	v_fma_f16 v23, v116, v45, -v23
	v_mul_f16_sdwa v45, v117, v47 dst_sel:DWORD dst_unused:UNUSED_PAD src0_sel:WORD_1 src1_sel:DWORD
	s_waitcnt lgkmcnt(6)
	v_lshrrev_b32_e32 v76, 16, v27
	v_fma_f16 v45, v117, v24, v45
	v_mul_f16_sdwa v24, v117, v24 dst_sel:DWORD dst_unused:UNUSED_PAD src0_sel:WORD_1 src1_sel:DWORD
	v_fma_f16 v24, v117, v47, -v24
	v_mul_f16_sdwa v47, v118, v76 dst_sel:DWORD dst_unused:UNUSED_PAD src0_sel:WORD_1 src1_sel:DWORD
	v_lshrrev_b32_e32 v78, 16, v28
	v_fma_f16 v47, v118, v27, v47
	v_mul_f16_sdwa v27, v118, v27 dst_sel:DWORD dst_unused:UNUSED_PAD src0_sel:WORD_1 src1_sel:DWORD
	v_fma_f16 v27, v118, v76, -v27
	v_mul_f16_sdwa v76, v119, v78 dst_sel:DWORD dst_unused:UNUSED_PAD src0_sel:WORD_1 src1_sel:DWORD
	s_waitcnt lgkmcnt(0)
	v_lshrrev_b32_e32 v80, 16, v31
	v_fma_f16 v76, v119, v28, v76
	v_mul_f16_sdwa v28, v119, v28 dst_sel:DWORD dst_unused:UNUSED_PAD src0_sel:WORD_1 src1_sel:DWORD
	v_fma_f16 v28, v119, v78, -v28
	v_mul_f16_sdwa v78, v120, v80 dst_sel:DWORD dst_unused:UNUSED_PAD src0_sel:WORD_1 src1_sel:DWORD
	v_lshrrev_b32_e32 v82, 16, v32
	v_fma_f16 v78, v120, v31, v78
	v_mul_f16_sdwa v31, v120, v31 dst_sel:DWORD dst_unused:UNUSED_PAD src0_sel:WORD_1 src1_sel:DWORD
	v_fma_f16 v31, v120, v80, -v31
	v_mul_f16_sdwa v80, v121, v82 dst_sel:DWORD dst_unused:UNUSED_PAD src0_sel:WORD_1 src1_sel:DWORD
	v_lshrrev_b32_e32 v3, 16, v7
	v_fma_f16 v80, v121, v32, v80
	v_mul_f16_sdwa v32, v121, v32 dst_sel:DWORD dst_unused:UNUSED_PAD src0_sel:WORD_1 src1_sel:DWORD
	v_lshrrev_b32_e32 v34, 16, v8
	v_fma_f16 v32, v121, v82, -v32
	v_sub_f16_e32 v82, v7, v83
	v_sub_f16_e32 v9, v3, v9
	v_fma_f16 v7, v7, 2.0, -v82
	v_fma_f16 v3, v3, 2.0, -v9
	v_sub_f16_e32 v33, v8, v33
	v_sub_f16_e32 v10, v34, v10
	v_lshrrev_b32_e32 v36, 16, v13
	v_lshrrev_b32_e32 v38, 16, v14
	v_fma_f16 v8, v8, 2.0, -v33
	v_fma_f16 v34, v34, 2.0, -v10
	v_pack_b32_f16 v3, v7, v3
	v_pack_b32_f16 v7, v82, v9
	v_sub_f16_e32 v35, v13, v35
	v_sub_f16_e32 v15, v36, v15
	;; [unrolled: 1-line block ×4, first 2 shown]
	s_waitcnt lgkmcnt(0)
	; wave barrier
	ds_write_b32 v69, v7 offset:1248
	v_pack_b32_f16 v7, v8, v34
	v_lshrrev_b32_e32 v40, 16, v17
	v_lshrrev_b32_e32 v42, 16, v18
	v_fma_f16 v13, v13, 2.0, -v35
	v_fma_f16 v36, v36, 2.0, -v15
	;; [unrolled: 1-line block ×4, first 2 shown]
	ds_write2_b32 v69, v3, v7 offset1:52
	v_pack_b32_f16 v3, v33, v10
	v_pack_b32_f16 v8, v35, v15
	v_lshrrev_b32_e32 v44, 16, v21
	v_sub_f16_e32 v39, v17, v39
	v_sub_f16_e32 v19, v40, v19
	;; [unrolled: 1-line block ×4, first 2 shown]
	v_pack_b32_f16 v7, v13, v36
	ds_write2_b32 v2, v3, v8 offset0:108 offset1:160
	v_pack_b32_f16 v3, v14, v38
	v_lshrrev_b32_e32 v46, 16, v22
	v_lshrrev_b32_e32 v48, 16, v25
	v_fma_f16 v17, v17, 2.0, -v39
	v_fma_f16 v40, v40, 2.0, -v19
	;; [unrolled: 1-line block ×4, first 2 shown]
	v_sub_f16_e32 v43, v21, v43
	v_sub_f16_e32 v23, v44, v23
	ds_write2_b32 v69, v7, v3 offset0:104 offset1:156
	v_pack_b32_f16 v3, v37, v16
	v_pack_b32_f16 v8, v39, v19
	v_fma_f16 v21, v21, 2.0, -v43
	v_fma_f16 v44, v44, 2.0, -v23
	v_sub_f16_e32 v45, v22, v45
	v_sub_f16_e32 v24, v46, v24
	;; [unrolled: 1-line block ×4, first 2 shown]
	v_pack_b32_f16 v7, v17, v40
	ds_write2_b32 v11, v3, v8 offset0:84 offset1:136
	v_pack_b32_f16 v3, v18, v42
	v_lshrrev_b32_e32 v77, 16, v26
	v_lshrrev_b32_e32 v79, 16, v29
	v_fma_f16 v22, v22, 2.0, -v45
	v_fma_f16 v46, v46, 2.0, -v24
	;; [unrolled: 1-line block ×4, first 2 shown]
	ds_write2_b32 v5, v7, v3 offset0:80 offset1:132
	v_pack_b32_f16 v3, v41, v20
	v_pack_b32_f16 v7, v21, v44
	v_sub_f16_e32 v76, v26, v76
	v_sub_f16_e32 v28, v77, v28
	;; [unrolled: 1-line block ×4, first 2 shown]
	ds_write2_b32 v1, v3, v7 offset0:60 offset1:112
	v_pack_b32_f16 v7, v22, v46
	v_pack_b32_f16 v9, v25, v48
	v_lshrrev_b32_e32 v81, 16, v30
	v_fma_f16 v26, v26, 2.0, -v76
	v_fma_f16 v77, v77, 2.0, -v28
	;; [unrolled: 1-line block ×4, first 2 shown]
	v_pack_b32_f16 v8, v45, v24
	ds_write2_b32 v1, v7, v9 offset0:164 offset1:216
	v_pack_b32_f16 v7, v47, v27
	v_add_u32_e32 v11, 0xe00, v69
	v_sub_f16_e32 v80, v30, v80
	v_sub_f16_e32 v32, v81, v32
	ds_write2_b32 v11, v8, v7 offset0:92 offset1:144
	v_pack_b32_f16 v7, v26, v77
	v_pack_b32_f16 v9, v29, v79
	v_fma_f16 v30, v30, 2.0, -v80
	v_fma_f16 v81, v81, 2.0, -v32
	v_pack_b32_f16 v8, v76, v28
	ds_write2_b32 v4, v7, v9 offset0:12 offset1:64
	v_pack_b32_f16 v7, v78, v31
	v_pack_b32_f16 v3, v43, v23
	ds_write2_b32 v0, v8, v7 offset0:68 offset1:120
	v_pack_b32_f16 v7, v30, v81
	ds_write2_b32 v4, v7, v3 offset0:116 offset1:168
	v_pack_b32_f16 v3, v80, v32
	ds_write_b32 v69, v3 offset:4784
	s_waitcnt lgkmcnt(0)
	; wave barrier
	s_waitcnt lgkmcnt(0)
	ds_read2_b32 v[7:8], v69 offset1:52
	ds_read2_b32 v[9:10], v1 offset0:112 offset1:164
	ds_read2_b32 v[15:16], v6 offset0:88 offset1:140
	;; [unrolled: 1-line block ×5, first 2 shown]
	s_waitcnt lgkmcnt(4)
	v_lshrrev_b32_e32 v33, 16, v9
	v_mul_f16_sdwa v83, v126, v33 dst_sel:DWORD dst_unused:UNUSED_PAD src0_sel:WORD_1 src1_sel:DWORD
	v_lshrrev_b32_e32 v35, 16, v10
	v_fma_f16 v83, v126, v9, v83
	v_mul_f16_sdwa v9, v126, v9 dst_sel:DWORD dst_unused:UNUSED_PAD src0_sel:WORD_1 src1_sel:DWORD
	v_fma_f16 v9, v126, v33, -v9
	v_mul_f16_sdwa v33, v127, v35 dst_sel:DWORD dst_unused:UNUSED_PAD src0_sel:WORD_1 src1_sel:DWORD
	s_waitcnt lgkmcnt(3)
	v_lshrrev_b32_e32 v37, 16, v15
	v_fma_f16 v33, v127, v10, v33
	v_mul_f16_sdwa v10, v127, v10 dst_sel:DWORD dst_unused:UNUSED_PAD src0_sel:WORD_1 src1_sel:DWORD
	v_fma_f16 v10, v127, v35, -v10
	v_mul_f16_sdwa v35, v128, v37 dst_sel:DWORD dst_unused:UNUSED_PAD src0_sel:WORD_1 src1_sel:DWORD
	v_lshrrev_b32_e32 v39, 16, v16
	v_fma_f16 v35, v128, v15, v35
	v_mul_f16_sdwa v15, v128, v15 dst_sel:DWORD dst_unused:UNUSED_PAD src0_sel:WORD_1 src1_sel:DWORD
	v_fma_f16 v15, v128, v37, -v15
	v_mul_f16_sdwa v37, v129, v39 dst_sel:DWORD dst_unused:UNUSED_PAD src0_sel:WORD_1 src1_sel:DWORD
	s_waitcnt lgkmcnt(2)
	v_lshrrev_b32_e32 v41, 16, v19
	v_fma_f16 v37, v129, v16, v37
	v_mul_f16_sdwa v16, v129, v16 dst_sel:DWORD dst_unused:UNUSED_PAD src0_sel:WORD_1 src1_sel:DWORD
	v_fma_f16 v16, v129, v39, -v16
	;; [unrolled: 11-line block ×3, first 2 shown]
	v_mul_f16_sdwa v43, v132, v45 dst_sel:DWORD dst_unused:UNUSED_PAD src0_sel:WORD_1 src1_sel:DWORD
	v_lshrrev_b32_e32 v47, 16, v24
	v_fma_f16 v43, v132, v23, v43
	v_mul_f16_sdwa v23, v132, v23 dst_sel:DWORD dst_unused:UNUSED_PAD src0_sel:WORD_1 src1_sel:DWORD
	ds_read2_b32 v[13:14], v69 offset0:104 offset1:156
	ds_read2_b32 v[17:18], v5 offset0:80 offset1:132
	;; [unrolled: 1-line block ×6, first 2 shown]
	v_fma_f16 v23, v132, v45, -v23
	v_mul_f16_sdwa v45, v133, v47 dst_sel:DWORD dst_unused:UNUSED_PAD src0_sel:WORD_1 src1_sel:DWORD
	s_waitcnt lgkmcnt(6)
	v_lshrrev_b32_e32 v76, 16, v27
	v_fma_f16 v45, v133, v24, v45
	v_mul_f16_sdwa v24, v133, v24 dst_sel:DWORD dst_unused:UNUSED_PAD src0_sel:WORD_1 src1_sel:DWORD
	v_fma_f16 v24, v133, v47, -v24
	v_mul_f16_sdwa v47, v134, v76 dst_sel:DWORD dst_unused:UNUSED_PAD src0_sel:WORD_1 src1_sel:DWORD
	v_lshrrev_b32_e32 v78, 16, v28
	v_fma_f16 v47, v134, v27, v47
	v_mul_f16_sdwa v27, v134, v27 dst_sel:DWORD dst_unused:UNUSED_PAD src0_sel:WORD_1 src1_sel:DWORD
	v_fma_f16 v27, v134, v76, -v27
	v_mul_f16_sdwa v76, v135, v78 dst_sel:DWORD dst_unused:UNUSED_PAD src0_sel:WORD_1 src1_sel:DWORD
	s_waitcnt lgkmcnt(0)
	v_lshrrev_b32_e32 v80, 16, v31
	v_fma_f16 v76, v135, v28, v76
	v_mul_f16_sdwa v28, v135, v28 dst_sel:DWORD dst_unused:UNUSED_PAD src0_sel:WORD_1 src1_sel:DWORD
	v_fma_f16 v28, v135, v78, -v28
	v_mul_f16_sdwa v78, v136, v80 dst_sel:DWORD dst_unused:UNUSED_PAD src0_sel:WORD_1 src1_sel:DWORD
	v_lshrrev_b32_e32 v82, 16, v32
	v_fma_f16 v78, v136, v31, v78
	v_mul_f16_sdwa v31, v136, v31 dst_sel:DWORD dst_unused:UNUSED_PAD src0_sel:WORD_1 src1_sel:DWORD
	v_fma_f16 v31, v136, v80, -v31
	v_mul_f16_sdwa v80, v137, v82 dst_sel:DWORD dst_unused:UNUSED_PAD src0_sel:WORD_1 src1_sel:DWORD
	v_lshrrev_b32_e32 v3, 16, v7
	v_fma_f16 v80, v137, v32, v80
	v_mul_f16_sdwa v32, v137, v32 dst_sel:DWORD dst_unused:UNUSED_PAD src0_sel:WORD_1 src1_sel:DWORD
	v_lshrrev_b32_e32 v34, 16, v8
	v_fma_f16 v32, v137, v82, -v32
	v_sub_f16_e32 v82, v7, v83
	v_sub_f16_e32 v9, v3, v9
	v_fma_f16 v7, v7, 2.0, -v82
	v_fma_f16 v3, v3, 2.0, -v9
	v_sub_f16_e32 v33, v8, v33
	v_sub_f16_e32 v10, v34, v10
	v_lshrrev_b32_e32 v36, 16, v13
	v_lshrrev_b32_e32 v38, 16, v14
	v_fma_f16 v8, v8, 2.0, -v33
	v_fma_f16 v34, v34, 2.0, -v10
	v_pack_b32_f16 v3, v7, v3
	v_pack_b32_f16 v7, v82, v9
	v_sub_f16_e32 v35, v13, v35
	v_sub_f16_e32 v15, v36, v15
	v_sub_f16_e32 v37, v14, v37
	v_sub_f16_e32 v16, v38, v16
	ds_write_b32 v69, v7 offset:2496
	v_pack_b32_f16 v7, v8, v34
	v_lshrrev_b32_e32 v40, 16, v17
	v_lshrrev_b32_e32 v42, 16, v18
	v_fma_f16 v13, v13, 2.0, -v35
	v_fma_f16 v36, v36, 2.0, -v15
	;; [unrolled: 1-line block ×4, first 2 shown]
	ds_write2_b32 v69, v3, v7 offset1:52
	v_pack_b32_f16 v3, v33, v10
	v_pack_b32_f16 v8, v35, v15
	v_sub_f16_e32 v39, v17, v39
	v_sub_f16_e32 v19, v40, v19
	v_sub_f16_e32 v41, v18, v41
	v_sub_f16_e32 v20, v42, v20
	v_pack_b32_f16 v7, v13, v36
	ds_write2_b32 v1, v3, v8 offset0:164 offset1:216
	v_pack_b32_f16 v3, v14, v38
	v_lshrrev_b32_e32 v44, 16, v21
	v_lshrrev_b32_e32 v46, 16, v22
	v_fma_f16 v17, v17, 2.0, -v39
	v_fma_f16 v40, v40, 2.0, -v19
	v_fma_f16 v18, v18, 2.0, -v41
	v_fma_f16 v42, v42, 2.0, -v20
	ds_write2_b32 v69, v7, v3 offset0:104 offset1:156
	v_pack_b32_f16 v3, v37, v16
	v_pack_b32_f16 v8, v39, v19
	v_sub_f16_e32 v43, v21, v43
	v_sub_f16_e32 v23, v44, v23
	v_sub_f16_e32 v45, v22, v45
	v_sub_f16_e32 v24, v46, v24
	v_pack_b32_f16 v7, v17, v40
	ds_write2_b32 v4, v3, v8 offset0:12 offset1:64
	v_pack_b32_f16 v3, v18, v42
	v_lshrrev_b32_e32 v48, 16, v25
	v_lshrrev_b32_e32 v77, 16, v26
	v_fma_f16 v21, v21, 2.0, -v43
	v_fma_f16 v44, v44, 2.0, -v23
	v_fma_f16 v22, v22, 2.0, -v45
	v_fma_f16 v46, v46, 2.0, -v24
	ds_write2_b32 v5, v7, v3 offset0:80 offset1:132
	;; [unrolled: 16-line block ×3, first 2 shown]
	v_pack_b32_f16 v3, v45, v24
	v_pack_b32_f16 v8, v47, v27
	v_sub_f16_e32 v78, v29, v78
	v_sub_f16_e32 v31, v79, v31
	;; [unrolled: 1-line block ×4, first 2 shown]
	v_pack_b32_f16 v7, v25, v48
	ds_write2_b32 v11, v3, v8 offset0:92 offset1:144
	v_pack_b32_f16 v3, v26, v77
	v_fma_f16 v29, v29, 2.0, -v78
	v_fma_f16 v79, v79, 2.0, -v31
	;; [unrolled: 1-line block ×4, first 2 shown]
	ds_write2_b32 v2, v7, v3 offset0:160 offset1:212
	v_pack_b32_f16 v3, v76, v28
	v_pack_b32_f16 v8, v78, v31
	;; [unrolled: 1-line block ×3, first 2 shown]
	ds_write2_b32 v0, v3, v8 offset0:68 offset1:120
	v_pack_b32_f16 v3, v30, v81
	ds_write2_b32 v1, v7, v3 offset0:8 offset1:60
	v_pack_b32_f16 v3, v80, v32
	ds_write_b32 v69, v3 offset:4784
	s_waitcnt lgkmcnt(0)
	; wave barrier
	s_waitcnt lgkmcnt(0)
	ds_read2_b32 v[8:9], v69 offset1:52
	s_mov_b32 s4, 0x1a41a41a
	s_mov_b32 s5, 0x3f4a41a4
	v_mad_u64_u32 v[10:11], s[0:1], s10, v12, 0
	s_waitcnt lgkmcnt(0)
	v_lshrrev_b32_e32 v7, 16, v8
	v_mul_f16_sdwa v3, v75, v7 dst_sel:DWORD dst_unused:UNUSED_PAD src0_sel:WORD_1 src1_sel:DWORD
	v_fma_f16 v3, v75, v8, v3
	v_cvt_f32_f16_e32 v3, v3
	s_movk_i32 s6, 0x1ff
	v_mul_f16_sdwa v8, v75, v8 dst_sel:DWORD dst_unused:UNUSED_PAD src0_sel:WORD_1 src1_sel:DWORD
	v_fma_f16 v7, v75, v7, -v8
	v_cvt_f64_f32_e32 v[13:14], v3
	v_mov_b32_e32 v3, v11
	v_mad_u64_u32 v[11:12], s[0:1], s11, v12, v[3:4]
	v_mul_f64 v[13:14], v[13:14], s[4:5]
	s_movk_i32 s7, 0xffe
	v_cvt_f32_f16_e32 v7, v7
	s_movk_i32 s10, 0x40f
	s_mov_b32 s11, 0x8000
	v_lshlrev_b64 v[10:11], 2, v[10:11]
	v_cvt_f64_f32_e32 v[7:8], v7
	v_mov_b32_e32 v20, s3
	v_and_or_b32 v3, v14, s6, v13
	v_cmp_ne_u32_e32 vcc, 0, v3
	v_cndmask_b32_e64 v3, 0, 1, vcc
	v_lshrrev_b32_e32 v12, 8, v14
	v_bfe_u32 v13, v14, 20, 11
	v_and_or_b32 v12, v12, s7, v3
	v_sub_u32_e32 v15, 0x3f1, v13
	v_or_b32_e32 v3, 0x1000, v12
	v_med3_i32 v15, v15, 0, 13
	v_lshrrev_b32_e32 v16, v15, v3
	v_lshlrev_b32_e32 v15, v15, v16
	v_cmp_ne_u32_e32 vcc, v15, v3
	v_cndmask_b32_e64 v3, 0, 1, vcc
	v_add_u32_e32 v13, 0xfffffc10, v13
	v_or_b32_e32 v3, v16, v3
	v_lshl_or_b32 v15, v13, 12, v12
	v_cmp_gt_i32_e32 vcc, 1, v13
	v_cndmask_b32_e32 v3, v15, v3, vcc
	v_mul_f64 v[7:8], v[7:8], s[4:5]
	v_and_b32_e32 v15, 7, v3
	v_cmp_lt_i32_e32 vcc, 5, v15
	v_cmp_eq_u32_e64 s[0:1], 3, v15
	v_lshrrev_b32_e32 v3, 2, v3
	s_or_b64 vcc, s[0:1], vcc
	v_addc_co_u32_e32 v15, vcc, 0, v3, vcc
	v_mov_b32_e32 v3, 0x7c00
	v_cmp_gt_i32_e32 vcc, 31, v13
	v_cndmask_b32_e32 v15, v3, v15, vcc
	v_cmp_ne_u32_e32 vcc, 0, v12
	v_cndmask_b32_e64 v12, 0, 1, vcc
	v_lshl_or_b32 v12, v12, 9, v3
	v_cmp_eq_u32_e32 vcc, s10, v13
	v_and_or_b32 v7, v8, s6, v7
	v_cndmask_b32_e32 v12, v15, v12, vcc
	v_lshrrev_b32_e32 v13, 16, v14
	v_cmp_ne_u32_e32 vcc, 0, v7
	v_and_or_b32 v16, v13, s11, v12
	v_cndmask_b32_e64 v7, 0, 1, vcc
	v_lshrrev_b32_e32 v12, 8, v8
	v_bfe_u32 v13, v8, 20, 11
	v_and_or_b32 v7, v12, s7, v7
	v_sub_u32_e32 v14, 0x3f1, v13
	v_or_b32_e32 v12, 0x1000, v7
	v_med3_i32 v14, v14, 0, 13
	v_lshrrev_b32_e32 v15, v14, v12
	v_lshlrev_b32_e32 v14, v14, v15
	v_cmp_ne_u32_e32 vcc, v14, v12
	v_cndmask_b32_e64 v12, 0, 1, vcc
	v_add_u32_e32 v14, 0xfffffc10, v13
	v_or_b32_e32 v12, v15, v12
	v_lshl_or_b32 v13, v14, 12, v7
	v_cmp_gt_i32_e32 vcc, 1, v14
	v_cndmask_b32_e32 v12, v13, v12, vcc
	v_and_b32_e32 v13, 7, v12
	v_cmp_lt_i32_e32 vcc, 5, v13
	v_cmp_eq_u32_e64 s[0:1], 3, v13
	v_lshrrev_b32_e32 v12, 2, v12
	s_or_b64 vcc, s[0:1], vcc
	v_addc_co_u32_e32 v12, vcc, 0, v12, vcc
	v_cmp_gt_i32_e32 vcc, 31, v14
	v_cndmask_b32_e32 v15, v3, v12, vcc
	v_cmp_ne_u32_e32 vcc, 0, v7
	v_cndmask_b32_e64 v7, 0, 1, vcc
	v_lshl_or_b32 v7, v7, 9, v3
	v_cmp_eq_u32_e32 vcc, s10, v14
	v_mad_u64_u32 v[12:13], s[0:1], s8, v73, 0
	v_cndmask_b32_e32 v17, v15, v7, vcc
	ds_read2_b32 v[14:15], v1 offset0:112 offset1:164
	v_mov_b32_e32 v7, v13
	v_lshrrev_b32_e32 v18, 16, v8
	v_mad_u64_u32 v[7:8], s[0:1], s9, v73, v[7:8]
	s_waitcnt lgkmcnt(0)
	v_lshrrev_b32_e32 v19, 16, v14
	v_mul_f16_sdwa v8, v74, v19 dst_sel:DWORD dst_unused:UNUSED_PAD src0_sel:WORD_1 src1_sel:DWORD
	v_fma_f16 v8, v74, v14, v8
	v_cvt_f32_f16_e32 v8, v8
	v_mov_b32_e32 v13, v7
	v_and_or_b32 v17, v18, s11, v17
	v_and_b32_e32 v16, 0xffff, v16
	v_cvt_f64_f32_e32 v[7:8], v8
	v_lshl_or_b32 v18, v17, 16, v16
	v_mul_f16_sdwa v14, v74, v14 dst_sel:DWORD dst_unused:UNUSED_PAD src0_sel:WORD_1 src1_sel:DWORD
	v_fma_f16 v14, v74, v19, -v14
	v_mul_f64 v[16:17], v[7:8], s[4:5]
	v_add_co_u32_e32 v7, vcc, s2, v10
	v_addc_co_u32_e32 v8, vcc, v20, v11, vcc
	v_lshlrev_b64 v[10:11], 2, v[12:13]
	v_cvt_f32_f16_e32 v14, v14
	v_add_co_u32_e32 v10, vcc, v7, v10
	v_addc_co_u32_e32 v11, vcc, v8, v11, vcc
	v_and_or_b32 v12, v17, s6, v16
	v_cmp_ne_u32_e32 vcc, 0, v12
	v_cndmask_b32_e64 v12, 0, 1, vcc
	v_lshrrev_b32_e32 v13, 8, v17
	v_and_or_b32 v16, v13, s7, v12
	v_bfe_u32 v13, v17, 20, 11
	global_store_dword v[10:11], v18, off
	v_sub_u32_e32 v18, 0x3f1, v13
	v_or_b32_e32 v12, 0x1000, v16
	v_med3_i32 v18, v18, 0, 13
	v_lshrrev_b32_e32 v20, v18, v12
	v_lshlrev_b32_e32 v18, v18, v20
	v_cmp_ne_u32_e32 vcc, v18, v12
	v_cndmask_b32_e64 v12, 0, 1, vcc
	v_add_u32_e32 v18, 0xfffffc10, v13
	v_or_b32_e32 v12, v20, v12
	v_lshl_or_b32 v13, v18, 12, v16
	v_cmp_gt_i32_e32 vcc, 1, v18
	v_cndmask_b32_e32 v12, v13, v12, vcc
	v_and_b32_e32 v13, 7, v12
	v_cmp_lt_i32_e32 vcc, 5, v13
	v_cmp_eq_u32_e64 s[0:1], 3, v13
	v_lshrrev_b32_e32 v19, 2, v12
	v_cvt_f64_f32_e32 v[12:13], v14
	s_or_b64 vcc, s[0:1], vcc
	v_addc_co_u32_e32 v14, vcc, 0, v19, vcc
	v_mul_f64 v[12:13], v[12:13], s[4:5]
	v_cmp_gt_i32_e32 vcc, 31, v18
	v_cndmask_b32_e32 v14, v3, v14, vcc
	v_cmp_ne_u32_e32 vcc, 0, v16
	v_cndmask_b32_e64 v16, 0, 1, vcc
	v_lshl_or_b32 v16, v16, 9, v3
	v_cmp_eq_u32_e32 vcc, s10, v18
	v_cndmask_b32_e32 v14, v14, v16, vcc
	v_and_or_b32 v12, v13, s6, v12
	v_lshrrev_b32_e32 v16, 16, v17
	v_cmp_ne_u32_e32 vcc, 0, v12
	v_and_or_b32 v14, v16, s11, v14
	v_cndmask_b32_e64 v12, 0, 1, vcc
	v_lshrrev_b32_e32 v16, 8, v13
	v_bfe_u32 v17, v13, 20, 11
	v_and_or_b32 v12, v16, s7, v12
	v_sub_u32_e32 v18, 0x3f1, v17
	v_or_b32_e32 v16, 0x1000, v12
	v_med3_i32 v18, v18, 0, 13
	v_lshrrev_b32_e32 v19, v18, v16
	v_lshlrev_b32_e32 v18, v18, v19
	v_cmp_ne_u32_e32 vcc, v18, v16
	v_cndmask_b32_e64 v16, 0, 1, vcc
	v_add_u32_e32 v17, 0xfffffc10, v17
	v_or_b32_e32 v16, v19, v16
	v_lshl_or_b32 v18, v17, 12, v12
	v_cmp_gt_i32_e32 vcc, 1, v17
	v_cndmask_b32_e32 v16, v18, v16, vcc
	v_and_b32_e32 v18, 7, v16
	v_cmp_lt_i32_e32 vcc, 5, v18
	v_cmp_eq_u32_e64 s[0:1], 3, v18
	v_lshrrev_b32_e32 v16, 2, v16
	s_or_b64 vcc, s[0:1], vcc
	v_addc_co_u32_e32 v16, vcc, 0, v16, vcc
	v_cmp_gt_i32_e32 vcc, 31, v17
	v_cndmask_b32_e32 v16, v3, v16, vcc
	v_cmp_ne_u32_e32 vcc, 0, v12
	v_cndmask_b32_e64 v12, 0, 1, vcc
	v_lshl_or_b32 v12, v12, 9, v3
	v_cmp_eq_u32_e32 vcc, s10, v17
	v_cndmask_b32_e32 v12, v16, v12, vcc
	v_lshrrev_b32_e32 v16, 16, v9
	v_mul_f16_sdwa v17, v72, v16 dst_sel:DWORD dst_unused:UNUSED_PAD src0_sel:WORD_1 src1_sel:DWORD
	v_fma_f16 v17, v72, v9, v17
	v_cvt_f32_f16_e32 v17, v17
	v_lshrrev_b32_e32 v13, 16, v13
	v_and_or_b32 v12, v13, s11, v12
	v_and_b32_e32 v13, 0xffff, v14
	v_lshl_or_b32 v14, v12, 16, v13
	v_cvt_f64_f32_e32 v[12:13], v17
	s_mul_i32 s0, s9, 0x9c0
	s_mul_hi_u32 s2, s8, 0x9c0
	s_add_i32 s2, s2, s0
	v_mul_f64 v[12:13], v[12:13], s[4:5]
	s_mul_i32 s3, s8, 0x9c0
	v_mov_b32_e32 v17, s2
	v_add_co_u32_e32 v10, vcc, s3, v10
	v_addc_co_u32_e32 v11, vcc, v11, v17, vcc
	global_store_dword v[10:11], v14, off
	v_and_or_b32 v12, v13, s6, v12
	v_cmp_ne_u32_e32 vcc, 0, v12
	v_cndmask_b32_e64 v12, 0, 1, vcc
	v_lshrrev_b32_e32 v14, 8, v13
	v_bfe_u32 v17, v13, 20, 11
	v_and_or_b32 v12, v14, s7, v12
	v_sub_u32_e32 v18, 0x3f1, v17
	v_or_b32_e32 v14, 0x1000, v12
	v_med3_i32 v18, v18, 0, 13
	v_lshrrev_b32_e32 v19, v18, v14
	v_lshlrev_b32_e32 v18, v18, v19
	v_mul_f16_sdwa v9, v72, v9 dst_sel:DWORD dst_unused:UNUSED_PAD src0_sel:WORD_1 src1_sel:DWORD
	v_cmp_ne_u32_e32 vcc, v18, v14
	v_fma_f16 v9, v72, v16, -v9
	v_cndmask_b32_e64 v14, 0, 1, vcc
	v_add_u32_e32 v18, 0xfffffc10, v17
	v_cvt_f32_f16_e32 v9, v9
	v_or_b32_e32 v14, v19, v14
	v_lshl_or_b32 v17, v18, 12, v12
	v_cmp_gt_i32_e32 vcc, 1, v18
	v_cndmask_b32_e32 v14, v17, v14, vcc
	v_and_b32_e32 v17, 7, v14
	v_cmp_lt_i32_e32 vcc, 5, v17
	v_cmp_eq_u32_e64 s[0:1], 3, v17
	v_cvt_f64_f32_e32 v[16:17], v9
	v_lshrrev_b32_e32 v14, 2, v14
	s_or_b64 vcc, s[0:1], vcc
	v_addc_co_u32_e32 v9, vcc, 0, v14, vcc
	v_mul_f64 v[16:17], v[16:17], s[4:5]
	v_cmp_gt_i32_e32 vcc, 31, v18
	v_cndmask_b32_e32 v9, v3, v9, vcc
	v_cmp_ne_u32_e32 vcc, 0, v12
	v_cndmask_b32_e64 v12, 0, 1, vcc
	v_lshl_or_b32 v12, v12, 9, v3
	v_cmp_eq_u32_e32 vcc, s10, v18
	v_cndmask_b32_e32 v9, v9, v12, vcc
	v_lshrrev_b32_e32 v12, 16, v13
	v_and_or_b32 v9, v12, s11, v9
	v_and_or_b32 v12, v17, s6, v16
	v_cmp_ne_u32_e32 vcc, 0, v12
	v_cndmask_b32_e64 v12, 0, 1, vcc
	v_lshrrev_b32_e32 v13, 8, v17
	v_bfe_u32 v14, v17, 20, 11
	v_and_or_b32 v12, v13, s7, v12
	v_sub_u32_e32 v16, 0x3f1, v14
	v_or_b32_e32 v13, 0x1000, v12
	v_med3_i32 v16, v16, 0, 13
	v_lshrrev_b32_e32 v18, v16, v13
	v_lshlrev_b32_e32 v16, v16, v18
	v_cmp_ne_u32_e32 vcc, v16, v13
	v_cndmask_b32_e64 v13, 0, 1, vcc
	v_add_u32_e32 v14, 0xfffffc10, v14
	v_or_b32_e32 v13, v18, v13
	v_lshl_or_b32 v16, v14, 12, v12
	v_cmp_gt_i32_e32 vcc, 1, v14
	v_cndmask_b32_e32 v13, v16, v13, vcc
	v_and_b32_e32 v16, 7, v13
	v_cmp_lt_i32_e32 vcc, 5, v16
	v_cmp_eq_u32_e64 s[0:1], 3, v16
	v_lshrrev_b32_e32 v13, 2, v13
	s_or_b64 vcc, s[0:1], vcc
	v_addc_co_u32_e32 v13, vcc, 0, v13, vcc
	v_cmp_gt_i32_e32 vcc, 31, v14
	v_cndmask_b32_e32 v13, v3, v13, vcc
	v_cmp_ne_u32_e32 vcc, 0, v12
	v_cndmask_b32_e64 v12, 0, 1, vcc
	v_lshl_or_b32 v12, v12, 9, v3
	v_cmp_eq_u32_e32 vcc, s10, v14
	v_cndmask_b32_e32 v12, v13, v12, vcc
	v_lshrrev_b32_e32 v13, 16, v17
	v_lshrrev_b32_e32 v14, 16, v15
	v_and_or_b32 v12, v13, s11, v12
	v_mul_f16_sdwa v13, v71, v14 dst_sel:DWORD dst_unused:UNUSED_PAD src0_sel:WORD_1 src1_sel:DWORD
	v_fma_f16 v13, v71, v15, v13
	v_cvt_f32_f16_e32 v13, v13
	v_and_b32_e32 v9, 0xffff, v9
	v_lshl_or_b32 v16, v12, 16, v9
	s_mul_hi_u32 s1, s8, 0xfffff710
	v_cvt_f64_f32_e32 v[12:13], v13
	s_mul_i32 s0, s9, 0xfffff710
	s_sub_i32 s12, s1, s8
	s_add_i32 s12, s12, s0
	v_mul_f64 v[12:13], v[12:13], s[4:5]
	s_mul_i32 s13, s8, 0xfffff710
	v_mov_b32_e32 v17, s12
	v_add_co_u32_e32 v9, vcc, s13, v10
	v_addc_co_u32_e32 v10, vcc, v11, v17, vcc
	global_store_dword v[9:10], v16, off
	v_and_or_b32 v11, v13, s6, v12
	v_cmp_ne_u32_e32 vcc, 0, v11
	v_cndmask_b32_e64 v11, 0, 1, vcc
	v_lshrrev_b32_e32 v12, 8, v13
	v_and_or_b32 v16, v12, s7, v11
	v_bfe_u32 v12, v13, 20, 11
	v_sub_u32_e32 v17, 0x3f1, v12
	v_or_b32_e32 v11, 0x1000, v16
	v_med3_i32 v17, v17, 0, 13
	v_lshrrev_b32_e32 v18, v17, v11
	v_lshlrev_b32_e32 v17, v17, v18
	v_mul_f16_sdwa v15, v71, v15 dst_sel:DWORD dst_unused:UNUSED_PAD src0_sel:WORD_1 src1_sel:DWORD
	v_cmp_ne_u32_e32 vcc, v17, v11
	v_fma_f16 v14, v71, v14, -v15
	v_cndmask_b32_e64 v11, 0, 1, vcc
	v_add_u32_e32 v17, 0xfffffc10, v12
	v_cvt_f32_f16_e32 v14, v14
	v_or_b32_e32 v11, v18, v11
	v_lshl_or_b32 v12, v17, 12, v16
	v_cmp_gt_i32_e32 vcc, 1, v17
	v_cndmask_b32_e32 v11, v12, v11, vcc
	v_and_b32_e32 v12, 7, v11
	v_cmp_lt_i32_e32 vcc, 5, v12
	v_cmp_eq_u32_e64 s[0:1], 3, v12
	v_lshrrev_b32_e32 v15, 2, v11
	v_cvt_f64_f32_e32 v[11:12], v14
	s_or_b64 vcc, s[0:1], vcc
	v_addc_co_u32_e32 v14, vcc, 0, v15, vcc
	v_mul_f64 v[11:12], v[11:12], s[4:5]
	v_cmp_gt_i32_e32 vcc, 31, v17
	v_cndmask_b32_e32 v14, v3, v14, vcc
	v_cmp_ne_u32_e32 vcc, 0, v16
	v_cndmask_b32_e64 v15, 0, 1, vcc
	v_lshl_or_b32 v15, v15, 9, v3
	v_cmp_eq_u32_e32 vcc, s10, v17
	v_cndmask_b32_e32 v14, v14, v15, vcc
	v_and_or_b32 v11, v12, s6, v11
	v_lshrrev_b32_e32 v13, 16, v13
	v_cmp_ne_u32_e32 vcc, 0, v11
	v_and_or_b32 v17, v13, s11, v14
	v_cndmask_b32_e64 v11, 0, 1, vcc
	v_lshrrev_b32_e32 v13, 8, v12
	v_bfe_u32 v14, v12, 20, 11
	v_and_or_b32 v11, v13, s7, v11
	v_sub_u32_e32 v15, 0x3f1, v14
	v_or_b32_e32 v13, 0x1000, v11
	v_med3_i32 v15, v15, 0, 13
	v_lshrrev_b32_e32 v16, v15, v13
	v_lshlrev_b32_e32 v15, v15, v16
	v_cmp_ne_u32_e32 vcc, v15, v13
	v_cndmask_b32_e64 v13, 0, 1, vcc
	v_add_u32_e32 v15, 0xfffffc10, v14
	v_or_b32_e32 v13, v16, v13
	v_lshl_or_b32 v14, v15, 12, v11
	v_cmp_gt_i32_e32 vcc, 1, v15
	v_cndmask_b32_e32 v13, v14, v13, vcc
	v_and_b32_e32 v14, 7, v13
	v_cmp_lt_i32_e32 vcc, 5, v14
	v_cmp_eq_u32_e64 s[0:1], 3, v14
	v_lshrrev_b32_e32 v13, 2, v13
	s_or_b64 vcc, s[0:1], vcc
	v_addc_co_u32_e32 v16, vcc, 0, v13, vcc
	ds_read2_b32 v[13:14], v69 offset0:104 offset1:156
	v_cmp_gt_i32_e32 vcc, 31, v15
	v_cndmask_b32_e32 v16, v3, v16, vcc
	v_cmp_ne_u32_e32 vcc, 0, v11
	v_cndmask_b32_e64 v11, 0, 1, vcc
	s_waitcnt lgkmcnt(0)
	v_lshrrev_b32_e32 v18, 16, v13
	v_mul_f16_sdwa v19, v70, v18 dst_sel:DWORD dst_unused:UNUSED_PAD src0_sel:WORD_1 src1_sel:DWORD
	v_fma_f16 v19, v70, v13, v19
	v_cvt_f32_f16_e32 v19, v19
	v_lshl_or_b32 v11, v11, 9, v3
	v_cmp_eq_u32_e32 vcc, s10, v15
	v_cndmask_b32_e32 v11, v16, v11, vcc
	v_cvt_f64_f32_e32 v[15:16], v19
	v_lshrrev_b32_e32 v12, 16, v12
	v_and_or_b32 v19, v12, s11, v11
	v_add_co_u32_e32 v9, vcc, s3, v9
	v_mul_f64 v[11:12], v[15:16], s[4:5]
	v_mov_b32_e32 v16, s2
	v_and_b32_e32 v17, 0xffff, v17
	v_addc_co_u32_e32 v10, vcc, v10, v16, vcc
	v_lshl_or_b32 v15, v19, 16, v17
	global_store_dword v[9:10], v15, off
	v_mul_f16_sdwa v13, v70, v13 dst_sel:DWORD dst_unused:UNUSED_PAD src0_sel:WORD_1 src1_sel:DWORD
	v_and_or_b32 v11, v12, s6, v11
	v_cmp_ne_u32_e32 vcc, 0, v11
	v_cndmask_b32_e64 v11, 0, 1, vcc
	v_lshrrev_b32_e32 v15, 8, v12
	v_bfe_u32 v16, v12, 20, 11
	v_and_or_b32 v11, v15, s7, v11
	v_sub_u32_e32 v17, 0x3f1, v16
	v_or_b32_e32 v15, 0x1000, v11
	v_med3_i32 v17, v17, 0, 13
	v_lshrrev_b32_e32 v19, v17, v15
	v_lshlrev_b32_e32 v17, v17, v19
	v_cmp_ne_u32_e32 vcc, v17, v15
	v_fma_f16 v13, v70, v18, -v13
	v_cndmask_b32_e64 v15, 0, 1, vcc
	v_add_u32_e32 v17, 0xfffffc10, v16
	v_cvt_f32_f16_e32 v13, v13
	v_or_b32_e32 v15, v19, v15
	v_lshl_or_b32 v16, v17, 12, v11
	v_cmp_gt_i32_e32 vcc, 1, v17
	v_cndmask_b32_e32 v15, v16, v15, vcc
	v_and_b32_e32 v16, 7, v15
	v_cmp_lt_i32_e32 vcc, 5, v16
	v_cmp_eq_u32_e64 s[0:1], 3, v16
	v_lshrrev_b32_e32 v18, 2, v15
	v_cvt_f64_f32_e32 v[15:16], v13
	s_or_b64 vcc, s[0:1], vcc
	v_addc_co_u32_e32 v13, vcc, 0, v18, vcc
	v_mul_f64 v[15:16], v[15:16], s[4:5]
	v_cmp_gt_i32_e32 vcc, 31, v17
	v_cndmask_b32_e32 v13, v3, v13, vcc
	v_cmp_ne_u32_e32 vcc, 0, v11
	v_cndmask_b32_e64 v11, 0, 1, vcc
	v_lshl_or_b32 v11, v11, 9, v3
	v_cmp_eq_u32_e32 vcc, s10, v17
	v_cndmask_b32_e32 v11, v13, v11, vcc
	v_lshrrev_b32_e32 v12, 16, v12
	v_and_or_b32 v13, v12, s11, v11
	v_and_or_b32 v11, v16, s6, v15
	v_cmp_ne_u32_e32 vcc, 0, v11
	v_cndmask_b32_e64 v11, 0, 1, vcc
	v_lshrrev_b32_e32 v12, 8, v16
	v_and_or_b32 v15, v12, s7, v11
	v_bfe_u32 v12, v16, 20, 11
	v_sub_u32_e32 v17, 0x3f1, v12
	v_or_b32_e32 v11, 0x1000, v15
	v_med3_i32 v17, v17, 0, 13
	v_lshrrev_b32_e32 v18, v17, v11
	v_lshlrev_b32_e32 v17, v17, v18
	v_cmp_ne_u32_e32 vcc, v17, v11
	v_cndmask_b32_e64 v11, 0, 1, vcc
	v_add_u32_e32 v17, 0xfffffc10, v12
	v_or_b32_e32 v11, v18, v11
	v_lshl_or_b32 v12, v17, 12, v15
	v_cmp_gt_i32_e32 vcc, 1, v17
	v_cndmask_b32_e32 v11, v12, v11, vcc
	v_and_b32_e32 v12, 7, v11
	v_cmp_lt_i32_e32 vcc, 5, v12
	v_cmp_eq_u32_e64 s[0:1], 3, v12
	v_lshrrev_b32_e32 v11, 2, v11
	s_or_b64 vcc, s[0:1], vcc
	v_addc_co_u32_e32 v18, vcc, 0, v11, vcc
	ds_read2_b32 v[11:12], v6 offset0:88 offset1:140
	v_cmp_gt_i32_e32 vcc, 31, v17
	v_cndmask_b32_e32 v6, v3, v18, vcc
	v_cmp_ne_u32_e32 vcc, 0, v15
	v_cndmask_b32_e64 v15, 0, 1, vcc
	s_waitcnt lgkmcnt(0)
	v_lshrrev_b32_e32 v19, 16, v11
	v_mul_f16_sdwa v18, v68, v19 dst_sel:DWORD dst_unused:UNUSED_PAD src0_sel:WORD_1 src1_sel:DWORD
	v_fma_f16 v18, v68, v11, v18
	v_cvt_f32_f16_e32 v18, v18
	v_cmp_eq_u32_e32 vcc, s10, v17
	v_lshl_or_b32 v15, v15, 9, v3
	v_cndmask_b32_e32 v6, v6, v15, vcc
	v_cvt_f64_f32_e32 v[17:18], v18
	v_lshrrev_b32_e32 v15, 16, v16
	v_and_or_b32 v6, v15, s11, v6
	v_and_b32_e32 v13, 0xffff, v13
	v_mul_f64 v[15:16], v[17:18], s[4:5]
	v_lshl_or_b32 v6, v6, 16, v13
	v_mov_b32_e32 v13, s12
	v_add_co_u32_e32 v9, vcc, s13, v9
	v_addc_co_u32_e32 v10, vcc, v10, v13, vcc
	global_store_dword v[9:10], v6, off
	v_and_or_b32 v6, v16, s6, v15
	v_cmp_ne_u32_e32 vcc, 0, v6
	v_cndmask_b32_e64 v6, 0, 1, vcc
	v_lshrrev_b32_e32 v13, 8, v16
	v_bfe_u32 v15, v16, 20, 11
	v_and_or_b32 v6, v13, s7, v6
	v_sub_u32_e32 v17, 0x3f1, v15
	v_or_b32_e32 v13, 0x1000, v6
	v_med3_i32 v17, v17, 0, 13
	v_lshrrev_b32_e32 v18, v17, v13
	v_lshlrev_b32_e32 v17, v17, v18
	v_mul_f16_sdwa v11, v68, v11 dst_sel:DWORD dst_unused:UNUSED_PAD src0_sel:WORD_1 src1_sel:DWORD
	v_cmp_ne_u32_e32 vcc, v17, v13
	v_fma_f16 v11, v68, v19, -v11
	v_cndmask_b32_e64 v13, 0, 1, vcc
	v_add_u32_e32 v15, 0xfffffc10, v15
	v_cvt_f32_f16_e32 v11, v11
	v_or_b32_e32 v13, v18, v13
	v_lshl_or_b32 v17, v15, 12, v6
	v_cmp_gt_i32_e32 vcc, 1, v15
	v_cndmask_b32_e32 v13, v17, v13, vcc
	v_and_b32_e32 v17, 7, v13
	v_cmp_lt_i32_e32 vcc, 5, v17
	v_cmp_eq_u32_e64 s[0:1], 3, v17
	v_cvt_f64_f32_e32 v[17:18], v11
	v_lshrrev_b32_e32 v13, 2, v13
	s_or_b64 vcc, s[0:1], vcc
	v_addc_co_u32_e32 v11, vcc, 0, v13, vcc
	v_mul_f64 v[17:18], v[17:18], s[4:5]
	v_cmp_gt_i32_e32 vcc, 31, v15
	v_cndmask_b32_e32 v11, v3, v11, vcc
	v_cmp_ne_u32_e32 vcc, 0, v6
	v_cndmask_b32_e64 v6, 0, 1, vcc
	v_lshl_or_b32 v6, v6, 9, v3
	v_cmp_eq_u32_e32 vcc, s10, v15
	v_cndmask_b32_e32 v6, v11, v6, vcc
	v_lshrrev_b32_e32 v11, 16, v16
	v_and_or_b32 v6, v11, s11, v6
	v_and_or_b32 v11, v18, s6, v17
	v_cmp_ne_u32_e32 vcc, 0, v11
	v_cndmask_b32_e64 v11, 0, 1, vcc
	v_lshrrev_b32_e32 v13, 8, v18
	v_bfe_u32 v15, v18, 20, 11
	v_and_or_b32 v11, v13, s7, v11
	v_sub_u32_e32 v16, 0x3f1, v15
	v_or_b32_e32 v13, 0x1000, v11
	v_med3_i32 v16, v16, 0, 13
	v_lshrrev_b32_e32 v17, v16, v13
	v_lshlrev_b32_e32 v16, v16, v17
	v_cmp_ne_u32_e32 vcc, v16, v13
	v_cndmask_b32_e64 v13, 0, 1, vcc
	v_add_u32_e32 v15, 0xfffffc10, v15
	v_or_b32_e32 v13, v17, v13
	v_lshl_or_b32 v16, v15, 12, v11
	v_cmp_gt_i32_e32 vcc, 1, v15
	v_cndmask_b32_e32 v13, v16, v13, vcc
	v_and_b32_e32 v16, 7, v13
	v_lshrrev_b32_e32 v17, 16, v14
	v_cmp_lt_i32_e32 vcc, 5, v16
	v_cmp_eq_u32_e64 s[0:1], 3, v16
	v_mul_f16_sdwa v16, v67, v17 dst_sel:DWORD dst_unused:UNUSED_PAD src0_sel:WORD_1 src1_sel:DWORD
	v_fma_f16 v16, v67, v14, v16
	v_lshrrev_b32_e32 v13, 2, v13
	s_or_b64 vcc, s[0:1], vcc
	v_cvt_f32_f16_e32 v16, v16
	v_addc_co_u32_e32 v13, vcc, 0, v13, vcc
	v_cmp_gt_i32_e32 vcc, 31, v15
	v_cndmask_b32_e32 v13, v3, v13, vcc
	v_cmp_ne_u32_e32 vcc, 0, v11
	v_cndmask_b32_e64 v11, 0, 1, vcc
	v_cmp_eq_u32_e32 vcc, s10, v15
	v_cvt_f64_f32_e32 v[15:16], v16
	v_lshl_or_b32 v11, v11, 9, v3
	v_cndmask_b32_e32 v11, v13, v11, vcc
	v_lshrrev_b32_e32 v13, 16, v18
	v_mul_f64 v[15:16], v[15:16], s[4:5]
	v_and_or_b32 v11, v13, s11, v11
	v_and_b32_e32 v6, 0xffff, v6
	v_lshl_or_b32 v6, v11, 16, v6
	v_mov_b32_e32 v11, s2
	v_add_co_u32_e32 v9, vcc, s3, v9
	v_addc_co_u32_e32 v10, vcc, v10, v11, vcc
	global_store_dword v[9:10], v6, off
	v_and_or_b32 v6, v16, s6, v15
	v_cmp_ne_u32_e32 vcc, 0, v6
	v_cndmask_b32_e64 v6, 0, 1, vcc
	v_lshrrev_b32_e32 v11, 8, v16
	v_bfe_u32 v13, v16, 20, 11
	v_and_or_b32 v6, v11, s7, v6
	v_sub_u32_e32 v15, 0x3f1, v13
	v_or_b32_e32 v11, 0x1000, v6
	v_med3_i32 v15, v15, 0, 13
	v_lshrrev_b32_e32 v18, v15, v11
	v_lshlrev_b32_e32 v15, v15, v18
	v_mul_f16_sdwa v14, v67, v14 dst_sel:DWORD dst_unused:UNUSED_PAD src0_sel:WORD_1 src1_sel:DWORD
	v_cmp_ne_u32_e32 vcc, v15, v11
	v_fma_f16 v14, v67, v17, -v14
	v_cndmask_b32_e64 v11, 0, 1, vcc
	v_add_u32_e32 v15, 0xfffffc10, v13
	v_cvt_f32_f16_e32 v14, v14
	v_or_b32_e32 v11, v18, v11
	v_lshl_or_b32 v13, v15, 12, v6
	v_cmp_gt_i32_e32 vcc, 1, v15
	v_cndmask_b32_e32 v11, v13, v11, vcc
	v_and_b32_e32 v13, 7, v11
	v_cmp_lt_i32_e32 vcc, 5, v13
	v_cmp_eq_u32_e64 s[0:1], 3, v13
	v_cvt_f64_f32_e32 v[13:14], v14
	v_lshrrev_b32_e32 v11, 2, v11
	s_or_b64 vcc, s[0:1], vcc
	v_addc_co_u32_e32 v11, vcc, 0, v11, vcc
	v_mul_f64 v[13:14], v[13:14], s[4:5]
	v_cmp_gt_i32_e32 vcc, 31, v15
	v_cndmask_b32_e32 v11, v3, v11, vcc
	v_cmp_ne_u32_e32 vcc, 0, v6
	v_cndmask_b32_e64 v6, 0, 1, vcc
	v_lshl_or_b32 v6, v6, 9, v3
	v_cmp_eq_u32_e32 vcc, s10, v15
	v_cndmask_b32_e32 v6, v11, v6, vcc
	v_lshrrev_b32_e32 v11, 16, v16
	v_and_or_b32 v6, v11, s11, v6
	v_and_or_b32 v11, v14, s6, v13
	v_cmp_ne_u32_e32 vcc, 0, v11
	v_cndmask_b32_e64 v11, 0, 1, vcc
	v_lshrrev_b32_e32 v13, 8, v14
	v_bfe_u32 v15, v14, 20, 11
	v_and_or_b32 v11, v13, s7, v11
	v_sub_u32_e32 v16, 0x3f1, v15
	v_or_b32_e32 v13, 0x1000, v11
	v_med3_i32 v16, v16, 0, 13
	v_lshrrev_b32_e32 v17, v16, v13
	v_lshlrev_b32_e32 v16, v16, v17
	v_cmp_ne_u32_e32 vcc, v16, v13
	v_cndmask_b32_e64 v13, 0, 1, vcc
	v_add_u32_e32 v15, 0xfffffc10, v15
	v_or_b32_e32 v13, v17, v13
	v_lshl_or_b32 v16, v15, 12, v11
	v_cmp_gt_i32_e32 vcc, 1, v15
	v_cndmask_b32_e32 v13, v16, v13, vcc
	v_and_b32_e32 v16, 7, v13
	v_lshrrev_b32_e32 v17, 16, v12
	v_cmp_lt_i32_e32 vcc, 5, v16
	v_cmp_eq_u32_e64 s[0:1], 3, v16
	v_mul_f16_sdwa v16, v66, v17 dst_sel:DWORD dst_unused:UNUSED_PAD src0_sel:WORD_1 src1_sel:DWORD
	v_fma_f16 v16, v66, v12, v16
	v_lshrrev_b32_e32 v13, 2, v13
	s_or_b64 vcc, s[0:1], vcc
	v_cvt_f32_f16_e32 v16, v16
	v_addc_co_u32_e32 v13, vcc, 0, v13, vcc
	v_cmp_gt_i32_e32 vcc, 31, v15
	v_cndmask_b32_e32 v13, v3, v13, vcc
	v_cmp_ne_u32_e32 vcc, 0, v11
	v_cndmask_b32_e64 v11, 0, 1, vcc
	v_cmp_eq_u32_e32 vcc, s10, v15
	v_cvt_f64_f32_e32 v[15:16], v16
	v_lshl_or_b32 v11, v11, 9, v3
	v_cndmask_b32_e32 v11, v13, v11, vcc
	v_lshrrev_b32_e32 v13, 16, v14
	v_and_or_b32 v11, v13, s11, v11
	v_mul_f64 v[13:14], v[15:16], s[4:5]
	v_and_b32_e32 v6, 0xffff, v6
	v_lshl_or_b32 v6, v11, 16, v6
	v_mov_b32_e32 v11, s12
	v_add_co_u32_e32 v9, vcc, s13, v9
	v_addc_co_u32_e32 v10, vcc, v10, v11, vcc
	global_store_dword v[9:10], v6, off
	v_and_or_b32 v6, v14, s6, v13
	v_cmp_ne_u32_e32 vcc, 0, v6
	v_cndmask_b32_e64 v6, 0, 1, vcc
	v_lshrrev_b32_e32 v11, 8, v14
	v_bfe_u32 v13, v14, 20, 11
	v_and_or_b32 v6, v11, s7, v6
	v_sub_u32_e32 v15, 0x3f1, v13
	v_or_b32_e32 v11, 0x1000, v6
	v_med3_i32 v15, v15, 0, 13
	v_lshrrev_b32_e32 v16, v15, v11
	v_lshlrev_b32_e32 v15, v15, v16
	v_mul_f16_sdwa v12, v66, v12 dst_sel:DWORD dst_unused:UNUSED_PAD src0_sel:WORD_1 src1_sel:DWORD
	v_cmp_ne_u32_e32 vcc, v15, v11
	v_fma_f16 v12, v66, v17, -v12
	v_cndmask_b32_e64 v11, 0, 1, vcc
	v_add_u32_e32 v13, 0xfffffc10, v13
	v_cvt_f32_f16_e32 v12, v12
	v_or_b32_e32 v11, v16, v11
	v_lshl_or_b32 v15, v13, 12, v6
	v_cmp_gt_i32_e32 vcc, 1, v13
	v_cndmask_b32_e32 v11, v15, v11, vcc
	v_and_b32_e32 v15, 7, v11
	v_cmp_lt_i32_e32 vcc, 5, v15
	v_cmp_eq_u32_e64 s[0:1], 3, v15
	v_lshrrev_b32_e32 v15, 2, v11
	v_cvt_f64_f32_e32 v[11:12], v12
	s_or_b64 vcc, s[0:1], vcc
	v_addc_co_u32_e32 v15, vcc, 0, v15, vcc
	v_mul_f64 v[11:12], v[11:12], s[4:5]
	v_cmp_gt_i32_e32 vcc, 31, v13
	v_cndmask_b32_e32 v15, v3, v15, vcc
	v_cmp_ne_u32_e32 vcc, 0, v6
	v_cndmask_b32_e64 v6, 0, 1, vcc
	v_lshl_or_b32 v6, v6, 9, v3
	v_cmp_eq_u32_e32 vcc, s10, v13
	v_cndmask_b32_e32 v6, v15, v6, vcc
	v_lshrrev_b32_e32 v13, 16, v14
	v_and_or_b32 v15, v13, s11, v6
	v_and_or_b32 v6, v12, s6, v11
	v_cmp_ne_u32_e32 vcc, 0, v6
	v_cndmask_b32_e64 v6, 0, 1, vcc
	v_lshrrev_b32_e32 v11, 8, v12
	v_bfe_u32 v13, v12, 20, 11
	v_and_or_b32 v11, v11, s7, v6
	v_sub_u32_e32 v14, 0x3f1, v13
	v_or_b32_e32 v6, 0x1000, v11
	v_med3_i32 v14, v14, 0, 13
	v_lshrrev_b32_e32 v16, v14, v6
	v_lshlrev_b32_e32 v14, v14, v16
	v_cmp_ne_u32_e32 vcc, v14, v6
	v_cndmask_b32_e64 v6, 0, 1, vcc
	v_add_u32_e32 v13, 0xfffffc10, v13
	v_or_b32_e32 v6, v16, v6
	v_lshl_or_b32 v14, v13, 12, v11
	v_cmp_gt_i32_e32 vcc, 1, v13
	v_cndmask_b32_e32 v6, v14, v6, vcc
	v_and_b32_e32 v14, 7, v6
	v_cmp_lt_i32_e32 vcc, 5, v14
	v_cmp_eq_u32_e64 s[0:1], 3, v14
	v_lshrrev_b32_e32 v6, 2, v6
	s_or_b64 vcc, s[0:1], vcc
	v_addc_co_u32_e32 v14, vcc, 0, v6, vcc
	ds_read2_b32 v[5:6], v5 offset0:80 offset1:132
	v_cmp_gt_i32_e32 vcc, 31, v13
	v_cndmask_b32_e32 v14, v3, v14, vcc
	v_cmp_ne_u32_e32 vcc, 0, v11
	v_cndmask_b32_e64 v11, 0, 1, vcc
	s_waitcnt lgkmcnt(0)
	v_lshrrev_b32_e32 v16, 16, v5
	v_mul_f16_sdwa v17, v65, v16 dst_sel:DWORD dst_unused:UNUSED_PAD src0_sel:WORD_1 src1_sel:DWORD
	v_fma_f16 v17, v65, v5, v17
	v_cvt_f32_f16_e32 v17, v17
	v_lshl_or_b32 v11, v11, 9, v3
	v_cmp_eq_u32_e32 vcc, s10, v13
	v_cndmask_b32_e32 v11, v14, v11, vcc
	v_cvt_f64_f32_e32 v[13:14], v17
	v_lshrrev_b32_e32 v12, 16, v12
	v_and_or_b32 v17, v12, s11, v11
	v_add_co_u32_e32 v9, vcc, s3, v9
	v_mul_f64 v[11:12], v[13:14], s[4:5]
	v_mov_b32_e32 v14, s2
	v_and_b32_e32 v15, 0xffff, v15
	v_addc_co_u32_e32 v10, vcc, v10, v14, vcc
	v_lshl_or_b32 v13, v17, 16, v15
	global_store_dword v[9:10], v13, off
	v_mul_f16_sdwa v5, v65, v5 dst_sel:DWORD dst_unused:UNUSED_PAD src0_sel:WORD_1 src1_sel:DWORD
	v_and_or_b32 v11, v12, s6, v11
	v_cmp_ne_u32_e32 vcc, 0, v11
	v_cndmask_b32_e64 v11, 0, 1, vcc
	v_lshrrev_b32_e32 v13, 8, v12
	v_bfe_u32 v14, v12, 20, 11
	v_and_or_b32 v11, v13, s7, v11
	v_sub_u32_e32 v15, 0x3f1, v14
	v_or_b32_e32 v13, 0x1000, v11
	v_med3_i32 v15, v15, 0, 13
	v_lshrrev_b32_e32 v17, v15, v13
	v_lshlrev_b32_e32 v15, v15, v17
	v_cmp_ne_u32_e32 vcc, v15, v13
	v_fma_f16 v5, v65, v16, -v5
	v_cndmask_b32_e64 v13, 0, 1, vcc
	v_add_u32_e32 v15, 0xfffffc10, v14
	v_cvt_f32_f16_e32 v5, v5
	v_or_b32_e32 v13, v17, v13
	v_lshl_or_b32 v14, v15, 12, v11
	v_cmp_gt_i32_e32 vcc, 1, v15
	v_cndmask_b32_e32 v13, v14, v13, vcc
	v_and_b32_e32 v14, 7, v13
	v_cmp_lt_i32_e32 vcc, 5, v14
	v_cmp_eq_u32_e64 s[0:1], 3, v14
	v_lshrrev_b32_e32 v16, 2, v13
	v_cvt_f64_f32_e32 v[13:14], v5
	s_or_b64 vcc, s[0:1], vcc
	v_addc_co_u32_e32 v5, vcc, 0, v16, vcc
	v_mul_f64 v[13:14], v[13:14], s[4:5]
	v_cmp_gt_i32_e32 vcc, 31, v15
	v_cndmask_b32_e32 v5, v3, v5, vcc
	v_cmp_ne_u32_e32 vcc, 0, v11
	v_cndmask_b32_e64 v11, 0, 1, vcc
	v_lshl_or_b32 v11, v11, 9, v3
	v_cmp_eq_u32_e32 vcc, s10, v15
	v_cndmask_b32_e32 v5, v5, v11, vcc
	v_lshrrev_b32_e32 v11, 16, v12
	v_and_or_b32 v5, v11, s11, v5
	v_and_or_b32 v11, v14, s6, v13
	v_cmp_ne_u32_e32 vcc, 0, v11
	v_cndmask_b32_e64 v11, 0, 1, vcc
	v_lshrrev_b32_e32 v12, 8, v14
	v_and_or_b32 v13, v12, s7, v11
	v_bfe_u32 v12, v14, 20, 11
	v_sub_u32_e32 v15, 0x3f1, v12
	v_or_b32_e32 v11, 0x1000, v13
	v_med3_i32 v15, v15, 0, 13
	v_lshrrev_b32_e32 v16, v15, v11
	v_lshlrev_b32_e32 v15, v15, v16
	v_cmp_ne_u32_e32 vcc, v15, v11
	v_cndmask_b32_e64 v11, 0, 1, vcc
	v_add_u32_e32 v15, 0xfffffc10, v12
	v_or_b32_e32 v11, v16, v11
	v_lshl_or_b32 v12, v15, 12, v13
	v_cmp_gt_i32_e32 vcc, 1, v15
	v_cndmask_b32_e32 v11, v12, v11, vcc
	v_and_b32_e32 v12, 7, v11
	v_cmp_lt_i32_e32 vcc, 5, v12
	v_cmp_eq_u32_e64 s[0:1], 3, v12
	v_lshrrev_b32_e32 v11, 2, v11
	s_or_b64 vcc, s[0:1], vcc
	v_addc_co_u32_e32 v16, vcc, 0, v11, vcc
	ds_read2_b32 v[11:12], v4 offset0:64 offset1:116
	v_cmp_gt_i32_e32 vcc, 31, v15
	v_cndmask_b32_e32 v16, v3, v16, vcc
	v_cmp_ne_u32_e32 vcc, 0, v13
	v_cndmask_b32_e64 v13, 0, 1, vcc
	s_waitcnt lgkmcnt(0)
	v_lshrrev_b32_e32 v17, 16, v11
	v_mul_f16_sdwa v18, v63, v17 dst_sel:DWORD dst_unused:UNUSED_PAD src0_sel:WORD_1 src1_sel:DWORD
	v_fma_f16 v18, v63, v11, v18
	v_cvt_f32_f16_e32 v18, v18
	v_lshl_or_b32 v13, v13, 9, v3
	v_cmp_eq_u32_e32 vcc, s10, v15
	v_cndmask_b32_e32 v13, v16, v13, vcc
	v_cvt_f64_f32_e32 v[15:16], v18
	v_lshrrev_b32_e32 v14, 16, v14
	v_and_or_b32 v18, v14, s11, v13
	v_and_b32_e32 v5, 0xffff, v5
	v_mul_f64 v[13:14], v[15:16], s[4:5]
	v_mov_b32_e32 v15, s12
	v_add_co_u32_e32 v9, vcc, s13, v9
	v_lshl_or_b32 v5, v18, 16, v5
	v_addc_co_u32_e32 v10, vcc, v10, v15, vcc
	global_store_dword v[9:10], v5, off
	v_and_or_b32 v5, v14, s6, v13
	v_cmp_ne_u32_e32 vcc, 0, v5
	v_cndmask_b32_e64 v5, 0, 1, vcc
	v_lshrrev_b32_e32 v13, 8, v14
	v_bfe_u32 v15, v14, 20, 11
	v_and_or_b32 v5, v13, s7, v5
	v_sub_u32_e32 v16, 0x3f1, v15
	v_or_b32_e32 v13, 0x1000, v5
	v_med3_i32 v16, v16, 0, 13
	v_lshrrev_b32_e32 v18, v16, v13
	v_lshlrev_b32_e32 v16, v16, v18
	v_cmp_ne_u32_e32 vcc, v16, v13
	v_mul_f16_sdwa v11, v63, v11 dst_sel:DWORD dst_unused:UNUSED_PAD src0_sel:WORD_1 src1_sel:DWORD
	v_cndmask_b32_e64 v13, 0, 1, vcc
	v_fma_f16 v11, v63, v17, -v11
	v_or_b32_e32 v13, v18, v13
	v_add_u32_e32 v18, 0xfffffc10, v15
	v_cvt_f32_f16_e32 v11, v11
	v_lshl_or_b32 v15, v18, 12, v5
	v_cmp_gt_i32_e32 vcc, 1, v18
	v_cndmask_b32_e32 v13, v15, v13, vcc
	v_and_b32_e32 v15, 7, v13
	v_cmp_lt_i32_e32 vcc, 5, v15
	v_cmp_eq_u32_e64 s[0:1], 3, v15
	v_cvt_f64_f32_e32 v[15:16], v11
	v_lshrrev_b32_e32 v13, 2, v13
	s_or_b64 vcc, s[0:1], vcc
	v_addc_co_u32_e32 v11, vcc, 0, v13, vcc
	v_mul_f64 v[15:16], v[15:16], s[4:5]
	v_cmp_gt_i32_e32 vcc, 31, v18
	v_cndmask_b32_e32 v11, v3, v11, vcc
	v_cmp_ne_u32_e32 vcc, 0, v5
	v_cndmask_b32_e64 v5, 0, 1, vcc
	v_lshl_or_b32 v5, v5, 9, v3
	v_cmp_eq_u32_e32 vcc, s10, v18
	v_cndmask_b32_e32 v5, v11, v5, vcc
	v_lshrrev_b32_e32 v11, 16, v14
	v_and_or_b32 v11, v11, s11, v5
	v_and_or_b32 v5, v16, s6, v15
	v_cmp_ne_u32_e32 vcc, 0, v5
	v_cndmask_b32_e64 v5, 0, 1, vcc
	v_lshrrev_b32_e32 v13, 8, v16
	v_bfe_u32 v14, v16, 20, 11
	v_and_or_b32 v5, v13, s7, v5
	v_sub_u32_e32 v15, 0x3f1, v14
	v_or_b32_e32 v13, 0x1000, v5
	v_med3_i32 v15, v15, 0, 13
	v_lshrrev_b32_e32 v17, v15, v13
	v_lshlrev_b32_e32 v15, v15, v17
	v_cmp_ne_u32_e32 vcc, v15, v13
	v_cndmask_b32_e64 v13, 0, 1, vcc
	v_add_u32_e32 v15, 0xfffffc10, v14
	v_or_b32_e32 v13, v17, v13
	v_lshl_or_b32 v14, v15, 12, v5
	v_cmp_gt_i32_e32 vcc, 1, v15
	v_cndmask_b32_e32 v13, v14, v13, vcc
	v_and_b32_e32 v14, 7, v13
	v_cmp_lt_i32_e32 vcc, 5, v14
	v_cmp_eq_u32_e64 s[0:1], 3, v14
	v_lshrrev_b32_e32 v13, 2, v13
	s_or_b64 vcc, s[0:1], vcc
	v_addc_co_u32_e32 v13, vcc, 0, v13, vcc
	v_cmp_gt_i32_e32 vcc, 31, v15
	v_cndmask_b32_e32 v17, v3, v13, vcc
	v_mad_u64_u32 v[13:14], s[0:1], s8, v61, 0
	v_cmp_ne_u32_e32 vcc, 0, v5
	v_cndmask_b32_e64 v5, 0, 1, vcc
	v_lshl_or_b32 v5, v5, 9, v3
	v_cmp_eq_u32_e32 vcc, s10, v15
	v_lshrrev_b32_e32 v18, 16, v6
	v_cndmask_b32_e32 v17, v17, v5, vcc
	v_mov_b32_e32 v5, v14
	v_mul_f16_sdwa v14, v62, v18 dst_sel:DWORD dst_unused:UNUSED_PAD src0_sel:WORD_1 src1_sel:DWORD
	v_fma_f16 v14, v62, v6, v14
	v_cvt_f32_f16_e32 v19, v14
	v_mad_u64_u32 v[14:15], s[0:1], s9, v61, v[5:6]
	v_lshrrev_b32_e32 v5, 16, v16
	v_cvt_f64_f32_e32 v[15:16], v19
	v_lshlrev_b64 v[13:14], 2, v[13:14]
	v_and_or_b32 v5, v5, s11, v17
	v_and_b32_e32 v11, 0xffff, v11
	v_mul_f64 v[15:16], v[15:16], s[4:5]
	v_add_co_u32_e32 v7, vcc, v7, v13
	v_lshl_or_b32 v5, v5, 16, v11
	v_addc_co_u32_e32 v8, vcc, v8, v14, vcc
	global_store_dword v[7:8], v5, off
	v_mul_f16_sdwa v6, v62, v6 dst_sel:DWORD dst_unused:UNUSED_PAD src0_sel:WORD_1 src1_sel:DWORD
	v_and_or_b32 v5, v16, s6, v15
	v_cmp_ne_u32_e32 vcc, 0, v5
	v_cndmask_b32_e64 v5, 0, 1, vcc
	v_lshrrev_b32_e32 v7, 8, v16
	v_bfe_u32 v8, v16, 20, 11
	v_and_or_b32 v7, v7, s7, v5
	v_sub_u32_e32 v11, 0x3f1, v8
	v_or_b32_e32 v5, 0x1000, v7
	v_med3_i32 v11, v11, 0, 13
	v_lshrrev_b32_e32 v13, v11, v5
	v_lshlrev_b32_e32 v11, v11, v13
	v_cmp_ne_u32_e32 vcc, v11, v5
	v_fma_f16 v6, v62, v18, -v6
	v_cndmask_b32_e64 v5, 0, 1, vcc
	v_add_u32_e32 v8, 0xfffffc10, v8
	v_cvt_f32_f16_e32 v6, v6
	v_or_b32_e32 v5, v13, v5
	v_lshl_or_b32 v11, v8, 12, v7
	v_cmp_gt_i32_e32 vcc, 1, v8
	v_cndmask_b32_e32 v5, v11, v5, vcc
	v_and_b32_e32 v11, 7, v5
	v_cmp_lt_i32_e32 vcc, 5, v11
	v_cmp_eq_u32_e64 s[0:1], 3, v11
	v_lshrrev_b32_e32 v11, 2, v5
	v_cvt_f64_f32_e32 v[5:6], v6
	s_or_b64 vcc, s[0:1], vcc
	v_addc_co_u32_e32 v11, vcc, 0, v11, vcc
	v_mul_f64 v[5:6], v[5:6], s[4:5]
	v_cmp_gt_i32_e32 vcc, 31, v8
	v_cndmask_b32_e32 v11, v3, v11, vcc
	v_cmp_ne_u32_e32 vcc, 0, v7
	v_cndmask_b32_e64 v7, 0, 1, vcc
	v_lshl_or_b32 v7, v7, 9, v3
	v_cmp_eq_u32_e32 vcc, s10, v8
	v_cndmask_b32_e32 v7, v11, v7, vcc
	v_and_or_b32 v5, v6, s6, v5
	v_lshrrev_b32_e32 v8, 16, v16
	v_cmp_ne_u32_e32 vcc, 0, v5
	v_and_or_b32 v11, v8, s11, v7
	v_cndmask_b32_e64 v5, 0, 1, vcc
	v_lshrrev_b32_e32 v7, 8, v6
	v_bfe_u32 v8, v6, 20, 11
	v_and_or_b32 v5, v7, s7, v5
	v_sub_u32_e32 v13, 0x3f1, v8
	v_or_b32_e32 v7, 0x1000, v5
	v_med3_i32 v13, v13, 0, 13
	v_lshrrev_b32_e32 v14, v13, v7
	v_lshlrev_b32_e32 v13, v13, v14
	v_cmp_ne_u32_e32 vcc, v13, v7
	v_cndmask_b32_e64 v7, 0, 1, vcc
	v_add_u32_e32 v8, 0xfffffc10, v8
	v_or_b32_e32 v7, v14, v7
	v_lshl_or_b32 v13, v8, 12, v5
	v_cmp_gt_i32_e32 vcc, 1, v8
	v_cndmask_b32_e32 v7, v13, v7, vcc
	v_and_b32_e32 v13, 7, v7
	v_cmp_lt_i32_e32 vcc, 5, v13
	v_cmp_eq_u32_e64 s[0:1], 3, v13
	v_lshrrev_b32_e32 v13, 16, v12
	v_lshrrev_b32_e32 v7, 2, v7
	s_or_b64 vcc, s[0:1], vcc
	v_mul_f16_sdwa v14, v64, v13 dst_sel:DWORD dst_unused:UNUSED_PAD src0_sel:WORD_1 src1_sel:DWORD
	v_addc_co_u32_e32 v7, vcc, 0, v7, vcc
	v_fma_f16 v14, v64, v12, v14
	v_cmp_gt_i32_e32 vcc, 31, v8
	v_cvt_f32_f16_e32 v14, v14
	v_cndmask_b32_e32 v7, v3, v7, vcc
	v_cmp_ne_u32_e32 vcc, 0, v5
	v_cndmask_b32_e64 v5, 0, 1, vcc
	v_lshl_or_b32 v5, v5, 9, v3
	v_cmp_eq_u32_e32 vcc, s10, v8
	v_cndmask_b32_e32 v5, v7, v5, vcc
	v_cvt_f64_f32_e32 v[7:8], v14
	v_lshrrev_b32_e32 v6, 16, v6
	v_and_or_b32 v14, v6, s11, v5
	v_mov_b32_e32 v15, 0xd0
	v_mul_f64 v[5:6], v[7:8], s[4:5]
	v_mad_u64_u32 v[7:8], s[0:1], s8, v15, v[9:10]
	v_and_b32_e32 v9, 0xffff, v11
	s_mul_i32 s0, s9, 0xd0
	v_lshl_or_b32 v9, v14, 16, v9
	v_add_u32_e32 v8, s0, v8
	global_store_dword v[7:8], v9, off
	v_and_or_b32 v5, v6, s6, v5
	v_cmp_ne_u32_e32 vcc, 0, v5
	v_cndmask_b32_e64 v5, 0, 1, vcc
	v_lshrrev_b32_e32 v9, 8, v6
	v_bfe_u32 v10, v6, 20, 11
	v_and_or_b32 v5, v9, s7, v5
	v_sub_u32_e32 v11, 0x3f1, v10
	v_or_b32_e32 v9, 0x1000, v5
	v_med3_i32 v11, v11, 0, 13
	v_lshrrev_b32_e32 v14, v11, v9
	v_lshlrev_b32_e32 v11, v11, v14
	v_mul_f16_sdwa v12, v64, v12 dst_sel:DWORD dst_unused:UNUSED_PAD src0_sel:WORD_1 src1_sel:DWORD
	v_cmp_ne_u32_e32 vcc, v11, v9
	v_fma_f16 v12, v64, v13, -v12
	v_cndmask_b32_e64 v9, 0, 1, vcc
	v_add_u32_e32 v11, 0xfffffc10, v10
	v_cvt_f32_f16_e32 v12, v12
	v_or_b32_e32 v9, v14, v9
	v_lshl_or_b32 v10, v11, 12, v5
	v_cmp_gt_i32_e32 vcc, 1, v11
	v_cndmask_b32_e32 v9, v10, v9, vcc
	v_and_b32_e32 v10, 7, v9
	v_cmp_lt_i32_e32 vcc, 5, v10
	v_cmp_eq_u32_e64 s[0:1], 3, v10
	v_lshrrev_b32_e32 v13, 2, v9
	v_cvt_f64_f32_e32 v[9:10], v12
	s_or_b64 vcc, s[0:1], vcc
	v_addc_co_u32_e32 v12, vcc, 0, v13, vcc
	v_mul_f64 v[9:10], v[9:10], s[4:5]
	v_cmp_gt_i32_e32 vcc, 31, v11
	v_cndmask_b32_e32 v12, v3, v12, vcc
	v_cmp_ne_u32_e32 vcc, 0, v5
	v_cndmask_b32_e64 v5, 0, 1, vcc
	v_lshl_or_b32 v5, v5, 9, v3
	v_cmp_eq_u32_e32 vcc, s10, v11
	v_cndmask_b32_e32 v5, v12, v5, vcc
	v_lshrrev_b32_e32 v6, 16, v6
	v_and_or_b32 v13, v6, s11, v5
	v_and_or_b32 v5, v10, s6, v9
	v_cmp_ne_u32_e32 vcc, 0, v5
	v_cndmask_b32_e64 v5, 0, 1, vcc
	v_lshrrev_b32_e32 v6, 8, v10
	v_and_or_b32 v9, v6, s7, v5
	v_bfe_u32 v6, v10, 20, 11
	v_sub_u32_e32 v11, 0x3f1, v6
	v_or_b32_e32 v5, 0x1000, v9
	v_med3_i32 v11, v11, 0, 13
	v_lshrrev_b32_e32 v12, v11, v5
	v_lshlrev_b32_e32 v11, v11, v12
	v_cmp_ne_u32_e32 vcc, v11, v5
	v_cndmask_b32_e64 v5, 0, 1, vcc
	v_add_u32_e32 v11, 0xfffffc10, v6
	v_or_b32_e32 v5, v12, v5
	v_lshl_or_b32 v6, v11, 12, v9
	v_cmp_gt_i32_e32 vcc, 1, v11
	v_cndmask_b32_e32 v5, v6, v5, vcc
	v_and_b32_e32 v6, 7, v5
	v_cmp_lt_i32_e32 vcc, 5, v6
	v_cmp_eq_u32_e64 s[0:1], 3, v6
	v_lshrrev_b32_e32 v5, 2, v5
	s_or_b64 vcc, s[0:1], vcc
	v_addc_co_u32_e32 v12, vcc, 0, v5, vcc
	ds_read2_b32 v[5:6], v2 offset0:56 offset1:108
	v_cmp_gt_i32_e32 vcc, 31, v11
	v_cndmask_b32_e32 v12, v3, v12, vcc
	v_cmp_ne_u32_e32 vcc, 0, v9
	v_cndmask_b32_e64 v9, 0, 1, vcc
	s_waitcnt lgkmcnt(0)
	v_lshrrev_b32_e32 v14, 16, v5
	v_mul_f16_sdwa v15, v59, v14 dst_sel:DWORD dst_unused:UNUSED_PAD src0_sel:WORD_1 src1_sel:DWORD
	v_fma_f16 v15, v59, v5, v15
	v_cvt_f32_f16_e32 v15, v15
	v_lshl_or_b32 v9, v9, 9, v3
	v_cmp_eq_u32_e32 vcc, s10, v11
	v_cndmask_b32_e32 v9, v12, v9, vcc
	v_cvt_f64_f32_e32 v[11:12], v15
	v_lshrrev_b32_e32 v10, 16, v10
	v_and_or_b32 v15, v10, s11, v9
	v_add_co_u32_e32 v7, vcc, s3, v7
	v_mul_f64 v[9:10], v[11:12], s[4:5]
	v_mov_b32_e32 v12, s2
	v_and_b32_e32 v13, 0xffff, v13
	v_addc_co_u32_e32 v8, vcc, v8, v12, vcc
	v_lshl_or_b32 v11, v15, 16, v13
	global_store_dword v[7:8], v11, off
	v_mul_f16_sdwa v5, v59, v5 dst_sel:DWORD dst_unused:UNUSED_PAD src0_sel:WORD_1 src1_sel:DWORD
	v_and_or_b32 v9, v10, s6, v9
	v_cmp_ne_u32_e32 vcc, 0, v9
	v_cndmask_b32_e64 v9, 0, 1, vcc
	v_lshrrev_b32_e32 v11, 8, v10
	v_bfe_u32 v12, v10, 20, 11
	v_and_or_b32 v9, v11, s7, v9
	v_sub_u32_e32 v13, 0x3f1, v12
	v_or_b32_e32 v11, 0x1000, v9
	v_med3_i32 v13, v13, 0, 13
	v_lshrrev_b32_e32 v15, v13, v11
	v_lshlrev_b32_e32 v13, v13, v15
	v_cmp_ne_u32_e32 vcc, v13, v11
	v_fma_f16 v5, v59, v14, -v5
	v_cndmask_b32_e64 v11, 0, 1, vcc
	v_add_u32_e32 v13, 0xfffffc10, v12
	v_cvt_f32_f16_e32 v5, v5
	v_or_b32_e32 v11, v15, v11
	v_lshl_or_b32 v12, v13, 12, v9
	v_cmp_gt_i32_e32 vcc, 1, v13
	v_cndmask_b32_e32 v11, v12, v11, vcc
	v_and_b32_e32 v12, 7, v11
	v_cmp_lt_i32_e32 vcc, 5, v12
	v_cmp_eq_u32_e64 s[0:1], 3, v12
	v_lshrrev_b32_e32 v14, 2, v11
	v_cvt_f64_f32_e32 v[11:12], v5
	s_or_b64 vcc, s[0:1], vcc
	v_addc_co_u32_e32 v5, vcc, 0, v14, vcc
	v_mul_f64 v[11:12], v[11:12], s[4:5]
	v_cmp_gt_i32_e32 vcc, 31, v13
	v_cndmask_b32_e32 v5, v3, v5, vcc
	v_cmp_ne_u32_e32 vcc, 0, v9
	v_cndmask_b32_e64 v9, 0, 1, vcc
	v_lshl_or_b32 v9, v9, 9, v3
	v_cmp_eq_u32_e32 vcc, s10, v13
	v_cndmask_b32_e32 v5, v5, v9, vcc
	v_lshrrev_b32_e32 v9, 16, v10
	v_and_or_b32 v13, v9, s11, v5
	v_and_or_b32 v5, v12, s6, v11
	v_cmp_ne_u32_e32 vcc, 0, v5
	v_cndmask_b32_e64 v5, 0, 1, vcc
	v_lshrrev_b32_e32 v9, 8, v12
	v_bfe_u32 v10, v12, 20, 11
	v_and_or_b32 v9, v9, s7, v5
	v_sub_u32_e32 v11, 0x3f1, v10
	v_or_b32_e32 v5, 0x1000, v9
	v_med3_i32 v11, v11, 0, 13
	v_lshrrev_b32_e32 v14, v11, v5
	v_lshlrev_b32_e32 v11, v11, v14
	v_cmp_ne_u32_e32 vcc, v11, v5
	v_cndmask_b32_e64 v5, 0, 1, vcc
	v_add_u32_e32 v10, 0xfffffc10, v10
	v_or_b32_e32 v5, v14, v5
	v_lshl_or_b32 v11, v10, 12, v9
	v_cmp_gt_i32_e32 vcc, 1, v10
	v_cndmask_b32_e32 v5, v11, v5, vcc
	v_and_b32_e32 v11, 7, v5
	v_cmp_lt_i32_e32 vcc, 5, v11
	v_cmp_eq_u32_e64 s[0:1], 3, v11
	v_lshrrev_b32_e32 v5, 2, v5
	s_or_b64 vcc, s[0:1], vcc
	v_addc_co_u32_e32 v11, vcc, 0, v5, vcc
	ds_read2_b32 v[4:5], v4 offset0:168 offset1:220
	v_cmp_gt_i32_e32 vcc, 31, v10
	v_cndmask_b32_e32 v11, v3, v11, vcc
	v_cmp_ne_u32_e32 vcc, 0, v9
	v_cndmask_b32_e64 v9, 0, 1, vcc
	s_waitcnt lgkmcnt(0)
	v_lshrrev_b32_e32 v14, 16, v4
	v_mul_f16_sdwa v15, v60, v14 dst_sel:DWORD dst_unused:UNUSED_PAD src0_sel:WORD_1 src1_sel:DWORD
	v_fma_f16 v15, v60, v4, v15
	v_cvt_f32_f16_e32 v15, v15
	v_lshl_or_b32 v9, v9, 9, v3
	v_cmp_eq_u32_e32 vcc, s10, v10
	v_cndmask_b32_e32 v11, v11, v9, vcc
	v_cvt_f64_f32_e32 v[9:10], v15
	v_lshrrev_b32_e32 v12, 16, v12
	v_and_or_b32 v11, v12, s11, v11
	v_and_b32_e32 v12, 0xffff, v13
	v_mul_f64 v[9:10], v[9:10], s[4:5]
	v_lshl_or_b32 v11, v11, 16, v12
	v_mov_b32_e32 v12, s12
	v_add_co_u32_e32 v7, vcc, s13, v7
	v_addc_co_u32_e32 v8, vcc, v8, v12, vcc
	global_store_dword v[7:8], v11, off
	v_and_or_b32 v9, v10, s6, v9
	v_cmp_ne_u32_e32 vcc, 0, v9
	v_cndmask_b32_e64 v9, 0, 1, vcc
	v_lshrrev_b32_e32 v11, 8, v10
	v_bfe_u32 v12, v10, 20, 11
	v_and_or_b32 v9, v11, s7, v9
	v_sub_u32_e32 v13, 0x3f1, v12
	v_or_b32_e32 v11, 0x1000, v9
	v_med3_i32 v13, v13, 0, 13
	v_lshrrev_b32_e32 v15, v13, v11
	v_lshlrev_b32_e32 v13, v13, v15
	v_mul_f16_sdwa v4, v60, v4 dst_sel:DWORD dst_unused:UNUSED_PAD src0_sel:WORD_1 src1_sel:DWORD
	v_cmp_ne_u32_e32 vcc, v13, v11
	v_fma_f16 v4, v60, v14, -v4
	v_cndmask_b32_e64 v11, 0, 1, vcc
	v_add_u32_e32 v13, 0xfffffc10, v12
	v_cvt_f32_f16_e32 v4, v4
	v_or_b32_e32 v11, v15, v11
	v_lshl_or_b32 v12, v13, 12, v9
	v_cmp_gt_i32_e32 vcc, 1, v13
	v_cndmask_b32_e32 v11, v12, v11, vcc
	v_and_b32_e32 v12, 7, v11
	v_cmp_lt_i32_e32 vcc, 5, v12
	v_cmp_eq_u32_e64 s[0:1], 3, v12
	v_lshrrev_b32_e32 v14, 2, v11
	v_cvt_f64_f32_e32 v[11:12], v4
	s_or_b64 vcc, s[0:1], vcc
	v_addc_co_u32_e32 v4, vcc, 0, v14, vcc
	v_mul_f64 v[11:12], v[11:12], s[4:5]
	v_cmp_gt_i32_e32 vcc, 31, v13
	v_cndmask_b32_e32 v4, v3, v4, vcc
	v_cmp_ne_u32_e32 vcc, 0, v9
	v_cndmask_b32_e64 v9, 0, 1, vcc
	v_lshl_or_b32 v9, v9, 9, v3
	v_cmp_eq_u32_e32 vcc, s10, v13
	v_cndmask_b32_e32 v4, v4, v9, vcc
	v_lshrrev_b32_e32 v9, 16, v10
	v_and_or_b32 v4, v9, s11, v4
	v_and_or_b32 v9, v12, s6, v11
	v_cmp_ne_u32_e32 vcc, 0, v9
	v_cndmask_b32_e64 v9, 0, 1, vcc
	v_lshrrev_b32_e32 v10, 8, v12
	v_bfe_u32 v11, v12, 20, 11
	v_and_or_b32 v9, v10, s7, v9
	v_sub_u32_e32 v13, 0x3f1, v11
	v_or_b32_e32 v10, 0x1000, v9
	v_med3_i32 v13, v13, 0, 13
	v_lshrrev_b32_e32 v14, v13, v10
	v_lshlrev_b32_e32 v13, v13, v14
	v_cmp_ne_u32_e32 vcc, v13, v10
	v_cndmask_b32_e64 v10, 0, 1, vcc
	v_add_u32_e32 v11, 0xfffffc10, v11
	v_or_b32_e32 v10, v14, v10
	v_lshl_or_b32 v13, v11, 12, v9
	v_cmp_gt_i32_e32 vcc, 1, v11
	v_cndmask_b32_e32 v10, v13, v10, vcc
	v_and_b32_e32 v13, 7, v10
	v_cmp_lt_i32_e32 vcc, 5, v13
	v_cmp_eq_u32_e64 s[0:1], 3, v13
	v_lshrrev_b32_e32 v13, 16, v6
	v_lshrrev_b32_e32 v10, 2, v10
	s_or_b64 vcc, s[0:1], vcc
	v_mul_f16_sdwa v14, v57, v13 dst_sel:DWORD dst_unused:UNUSED_PAD src0_sel:WORD_1 src1_sel:DWORD
	v_addc_co_u32_e32 v10, vcc, 0, v10, vcc
	v_fma_f16 v14, v57, v6, v14
	v_cmp_gt_i32_e32 vcc, 31, v11
	v_cvt_f32_f16_e32 v14, v14
	v_cndmask_b32_e32 v10, v3, v10, vcc
	v_cmp_ne_u32_e32 vcc, 0, v9
	v_cndmask_b32_e64 v9, 0, 1, vcc
	v_lshl_or_b32 v9, v9, 9, v3
	v_cmp_eq_u32_e32 vcc, s10, v11
	v_cndmask_b32_e32 v11, v10, v9, vcc
	v_cvt_f64_f32_e32 v[9:10], v14
	v_lshrrev_b32_e32 v12, 16, v12
	v_and_or_b32 v11, v12, s11, v11
	v_and_b32_e32 v4, 0xffff, v4
	v_mul_f64 v[9:10], v[9:10], s[4:5]
	v_lshl_or_b32 v4, v11, 16, v4
	v_mov_b32_e32 v11, s2
	v_add_co_u32_e32 v7, vcc, s3, v7
	v_addc_co_u32_e32 v8, vcc, v8, v11, vcc
	global_store_dword v[7:8], v4, off
	v_and_or_b32 v4, v10, s6, v9
	v_cmp_ne_u32_e32 vcc, 0, v4
	v_cndmask_b32_e64 v4, 0, 1, vcc
	v_lshrrev_b32_e32 v9, 8, v10
	v_bfe_u32 v11, v10, 20, 11
	v_and_or_b32 v4, v9, s7, v4
	v_sub_u32_e32 v12, 0x3f1, v11
	v_or_b32_e32 v9, 0x1000, v4
	v_med3_i32 v12, v12, 0, 13
	v_lshrrev_b32_e32 v14, v12, v9
	v_lshlrev_b32_e32 v12, v12, v14
	v_cmp_ne_u32_e32 vcc, v12, v9
	v_mul_f16_sdwa v6, v57, v6 dst_sel:DWORD dst_unused:UNUSED_PAD src0_sel:WORD_1 src1_sel:DWORD
	v_cndmask_b32_e64 v9, 0, 1, vcc
	v_fma_f16 v6, v57, v13, -v6
	v_or_b32_e32 v9, v14, v9
	v_add_u32_e32 v14, 0xfffffc10, v11
	v_cvt_f32_f16_e32 v6, v6
	v_lshl_or_b32 v11, v14, 12, v4
	v_cmp_gt_i32_e32 vcc, 1, v14
	v_cndmask_b32_e32 v9, v11, v9, vcc
	v_and_b32_e32 v11, 7, v9
	v_cmp_lt_i32_e32 vcc, 5, v11
	v_cmp_eq_u32_e64 s[0:1], 3, v11
	v_cvt_f64_f32_e32 v[11:12], v6
	v_lshrrev_b32_e32 v9, 2, v9
	s_or_b64 vcc, s[0:1], vcc
	v_addc_co_u32_e32 v6, vcc, 0, v9, vcc
	v_mul_f64 v[11:12], v[11:12], s[4:5]
	v_cmp_gt_i32_e32 vcc, 31, v14
	v_cndmask_b32_e32 v6, v3, v6, vcc
	v_cmp_ne_u32_e32 vcc, 0, v4
	v_cndmask_b32_e64 v4, 0, 1, vcc
	v_lshl_or_b32 v4, v4, 9, v3
	v_cmp_eq_u32_e32 vcc, s10, v14
	v_cndmask_b32_e32 v4, v6, v4, vcc
	v_lshrrev_b32_e32 v6, 16, v10
	v_and_or_b32 v4, v6, s11, v4
	v_and_or_b32 v6, v12, s6, v11
	v_cmp_ne_u32_e32 vcc, 0, v6
	v_cndmask_b32_e64 v6, 0, 1, vcc
	v_lshrrev_b32_e32 v9, 8, v12
	v_bfe_u32 v10, v12, 20, 11
	v_and_or_b32 v6, v9, s7, v6
	v_sub_u32_e32 v11, 0x3f1, v10
	v_or_b32_e32 v9, 0x1000, v6
	v_med3_i32 v11, v11, 0, 13
	v_lshrrev_b32_e32 v13, v11, v9
	v_lshlrev_b32_e32 v11, v11, v13
	v_cmp_ne_u32_e32 vcc, v11, v9
	v_cndmask_b32_e64 v9, 0, 1, vcc
	v_add_u32_e32 v10, 0xfffffc10, v10
	v_or_b32_e32 v9, v13, v9
	v_lshl_or_b32 v11, v10, 12, v6
	v_cmp_gt_i32_e32 vcc, 1, v10
	v_cndmask_b32_e32 v9, v11, v9, vcc
	v_and_b32_e32 v11, 7, v9
	v_cmp_lt_i32_e32 vcc, 5, v11
	v_cmp_eq_u32_e64 s[0:1], 3, v11
	v_lshrrev_b32_e32 v11, 16, v5
	v_lshrrev_b32_e32 v9, 2, v9
	s_or_b64 vcc, s[0:1], vcc
	v_mul_f16_sdwa v13, v58, v11 dst_sel:DWORD dst_unused:UNUSED_PAD src0_sel:WORD_1 src1_sel:DWORD
	v_addc_co_u32_e32 v9, vcc, 0, v9, vcc
	v_fma_f16 v13, v58, v5, v13
	v_cmp_gt_i32_e32 vcc, 31, v10
	v_cvt_f32_f16_e32 v13, v13
	v_cndmask_b32_e32 v9, v3, v9, vcc
	v_cmp_ne_u32_e32 vcc, 0, v6
	v_cndmask_b32_e64 v6, 0, 1, vcc
	v_lshl_or_b32 v6, v6, 9, v3
	v_cmp_eq_u32_e32 vcc, s10, v10
	v_cndmask_b32_e32 v6, v9, v6, vcc
	v_cvt_f64_f32_e32 v[9:10], v13
	v_lshrrev_b32_e32 v12, 16, v12
	v_and_or_b32 v6, v12, s11, v6
	v_and_b32_e32 v4, 0xffff, v4
	v_mul_f64 v[9:10], v[9:10], s[4:5]
	v_lshl_or_b32 v4, v6, 16, v4
	v_mov_b32_e32 v12, s12
	v_add_co_u32_e32 v6, vcc, s13, v7
	v_addc_co_u32_e32 v7, vcc, v8, v12, vcc
	global_store_dword v[6:7], v4, off
	v_and_or_b32 v4, v10, s6, v9
	v_cmp_ne_u32_e32 vcc, 0, v4
	v_cndmask_b32_e64 v4, 0, 1, vcc
	v_lshrrev_b32_e32 v8, 8, v10
	v_bfe_u32 v9, v10, 20, 11
	v_and_or_b32 v8, v8, s7, v4
	v_sub_u32_e32 v12, 0x3f1, v9
	v_or_b32_e32 v4, 0x1000, v8
	v_med3_i32 v12, v12, 0, 13
	v_lshrrev_b32_e32 v13, v12, v4
	v_mul_f16_sdwa v5, v58, v5 dst_sel:DWORD dst_unused:UNUSED_PAD src0_sel:WORD_1 src1_sel:DWORD
	v_lshlrev_b32_e32 v12, v12, v13
	v_fma_f16 v5, v58, v11, -v5
	v_cmp_ne_u32_e32 vcc, v12, v4
	v_cvt_f32_f16_e32 v5, v5
	v_cndmask_b32_e64 v4, 0, 1, vcc
	v_add_u32_e32 v9, 0xfffffc10, v9
	v_or_b32_e32 v4, v13, v4
	v_lshl_or_b32 v12, v9, 12, v8
	v_cmp_gt_i32_e32 vcc, 1, v9
	v_cndmask_b32_e32 v4, v12, v4, vcc
	v_and_b32_e32 v12, 7, v4
	v_lshrrev_b32_e32 v11, 2, v4
	v_cvt_f64_f32_e32 v[4:5], v5
	v_cmp_lt_i32_e32 vcc, 5, v12
	v_cmp_eq_u32_e64 s[0:1], 3, v12
	s_or_b64 vcc, s[0:1], vcc
	v_mul_f64 v[4:5], v[4:5], s[4:5]
	v_addc_co_u32_e32 v11, vcc, 0, v11, vcc
	v_cmp_gt_i32_e32 vcc, 31, v9
	v_cndmask_b32_e32 v11, v3, v11, vcc
	v_cmp_ne_u32_e32 vcc, 0, v8
	v_cndmask_b32_e64 v8, 0, 1, vcc
	v_lshl_or_b32 v8, v8, 9, v3
	v_cmp_eq_u32_e32 vcc, s10, v9
	v_and_or_b32 v4, v5, s6, v4
	v_cndmask_b32_e32 v8, v11, v8, vcc
	v_lshrrev_b32_e32 v9, 16, v10
	v_cmp_ne_u32_e32 vcc, 0, v4
	v_and_or_b32 v12, v9, s11, v8
	v_cndmask_b32_e64 v4, 0, 1, vcc
	v_lshrrev_b32_e32 v8, 8, v5
	v_bfe_u32 v9, v5, 20, 11
	v_and_or_b32 v4, v8, s7, v4
	v_sub_u32_e32 v10, 0x3f1, v9
	v_or_b32_e32 v8, 0x1000, v4
	v_med3_i32 v10, v10, 0, 13
	v_lshrrev_b32_e32 v11, v10, v8
	v_lshlrev_b32_e32 v10, v10, v11
	v_cmp_ne_u32_e32 vcc, v10, v8
	v_cndmask_b32_e64 v8, 0, 1, vcc
	v_add_u32_e32 v10, 0xfffffc10, v9
	v_or_b32_e32 v8, v11, v8
	v_lshl_or_b32 v9, v10, 12, v4
	v_cmp_gt_i32_e32 vcc, 1, v10
	v_cndmask_b32_e32 v8, v9, v8, vcc
	v_and_b32_e32 v9, 7, v8
	v_cmp_lt_i32_e32 vcc, 5, v9
	v_cmp_eq_u32_e64 s[0:1], 3, v9
	v_lshrrev_b32_e32 v8, 2, v8
	s_or_b64 vcc, s[0:1], vcc
	v_addc_co_u32_e32 v11, vcc, 0, v8, vcc
	ds_read2_b32 v[8:9], v2 offset0:160 offset1:212
	v_cmp_gt_i32_e32 vcc, 31, v10
	v_cndmask_b32_e32 v2, v3, v11, vcc
	v_cmp_ne_u32_e32 vcc, 0, v4
	v_cndmask_b32_e64 v4, 0, 1, vcc
	s_waitcnt lgkmcnt(0)
	v_lshrrev_b32_e32 v13, 16, v8
	v_mul_f16_sdwa v11, v55, v13 dst_sel:DWORD dst_unused:UNUSED_PAD src0_sel:WORD_1 src1_sel:DWORD
	v_fma_f16 v11, v55, v8, v11
	v_cvt_f32_f16_e32 v11, v11
	v_cmp_eq_u32_e32 vcc, s10, v10
	v_lshl_or_b32 v4, v4, 9, v3
	v_cndmask_b32_e32 v2, v2, v4, vcc
	v_cvt_f64_f32_e32 v[10:11], v11
	v_lshrrev_b32_e32 v4, 16, v5
	v_and_or_b32 v2, v4, s11, v2
	v_and_b32_e32 v12, 0xffff, v12
	v_mul_f64 v[4:5], v[10:11], s[4:5]
	v_mov_b32_e32 v10, s2
	v_add_co_u32_e32 v6, vcc, s3, v6
	v_lshl_or_b32 v2, v2, 16, v12
	v_addc_co_u32_e32 v7, vcc, v7, v10, vcc
	global_store_dword v[6:7], v2, off
	v_and_or_b32 v2, v5, s6, v4
	v_cmp_ne_u32_e32 vcc, 0, v2
	v_cndmask_b32_e64 v2, 0, 1, vcc
	v_lshrrev_b32_e32 v4, 8, v5
	v_bfe_u32 v10, v5, 20, 11
	v_and_or_b32 v2, v4, s7, v2
	v_sub_u32_e32 v11, 0x3f1, v10
	v_or_b32_e32 v4, 0x1000, v2
	v_med3_i32 v11, v11, 0, 13
	v_lshrrev_b32_e32 v12, v11, v4
	v_lshlrev_b32_e32 v11, v11, v12
	v_cmp_ne_u32_e32 vcc, v11, v4
	v_mul_f16_sdwa v8, v55, v8 dst_sel:DWORD dst_unused:UNUSED_PAD src0_sel:WORD_1 src1_sel:DWORD
	v_cndmask_b32_e64 v4, 0, 1, vcc
	v_fma_f16 v8, v55, v13, -v8
	v_or_b32_e32 v4, v12, v4
	v_add_u32_e32 v12, 0xfffffc10, v10
	v_cvt_f32_f16_e32 v8, v8
	v_lshl_or_b32 v10, v12, 12, v2
	v_cmp_gt_i32_e32 vcc, 1, v12
	v_cndmask_b32_e32 v4, v10, v4, vcc
	v_and_b32_e32 v10, 7, v4
	v_cmp_lt_i32_e32 vcc, 5, v10
	v_cmp_eq_u32_e64 s[0:1], 3, v10
	v_cvt_f64_f32_e32 v[10:11], v8
	v_lshrrev_b32_e32 v4, 2, v4
	s_or_b64 vcc, s[0:1], vcc
	v_addc_co_u32_e32 v4, vcc, 0, v4, vcc
	v_mul_f64 v[10:11], v[10:11], s[4:5]
	v_cmp_gt_i32_e32 vcc, 31, v12
	v_cndmask_b32_e32 v4, v3, v4, vcc
	v_cmp_ne_u32_e32 vcc, 0, v2
	v_cndmask_b32_e64 v2, 0, 1, vcc
	v_lshl_or_b32 v2, v2, 9, v3
	v_cmp_eq_u32_e32 vcc, s10, v12
	v_cndmask_b32_e32 v2, v4, v2, vcc
	v_lshrrev_b32_e32 v4, 16, v5
	v_and_or_b32 v2, v4, s11, v2
	v_and_or_b32 v4, v11, s6, v10
	v_cmp_ne_u32_e32 vcc, 0, v4
	v_cndmask_b32_e64 v4, 0, 1, vcc
	v_lshrrev_b32_e32 v5, 8, v11
	v_and_or_b32 v8, v5, s7, v4
	v_bfe_u32 v5, v11, 20, 11
	v_sub_u32_e32 v10, 0x3f1, v5
	v_or_b32_e32 v4, 0x1000, v8
	v_med3_i32 v10, v10, 0, 13
	v_lshrrev_b32_e32 v12, v10, v4
	v_lshlrev_b32_e32 v10, v10, v12
	v_cmp_ne_u32_e32 vcc, v10, v4
	v_cndmask_b32_e64 v4, 0, 1, vcc
	v_add_u32_e32 v10, 0xfffffc10, v5
	v_or_b32_e32 v4, v12, v4
	v_lshl_or_b32 v5, v10, 12, v8
	v_cmp_gt_i32_e32 vcc, 1, v10
	v_cndmask_b32_e32 v4, v5, v4, vcc
	v_and_b32_e32 v5, 7, v4
	v_cmp_lt_i32_e32 vcc, 5, v5
	v_cmp_eq_u32_e64 s[0:1], 3, v5
	v_lshrrev_b32_e32 v4, 2, v4
	s_or_b64 vcc, s[0:1], vcc
	v_addc_co_u32_e32 v12, vcc, 0, v4, vcc
	ds_read2_b32 v[4:5], v0 offset0:16 offset1:68
	v_cmp_gt_i32_e32 vcc, 31, v10
	v_cndmask_b32_e32 v12, v3, v12, vcc
	v_cmp_ne_u32_e32 vcc, 0, v8
	v_cndmask_b32_e64 v8, 0, 1, vcc
	s_waitcnt lgkmcnt(0)
	v_lshrrev_b32_e32 v14, 16, v4
	v_mul_f16_sdwa v13, v56, v14 dst_sel:DWORD dst_unused:UNUSED_PAD src0_sel:WORD_1 src1_sel:DWORD
	v_fma_f16 v13, v56, v4, v13
	v_cvt_f32_f16_e32 v13, v13
	v_lshl_or_b32 v8, v8, 9, v3
	v_cmp_eq_u32_e32 vcc, s10, v10
	v_cndmask_b32_e32 v8, v12, v8, vcc
	v_cvt_f64_f32_e32 v[12:13], v13
	v_lshrrev_b32_e32 v10, 16, v11
	v_and_or_b32 v8, v10, s11, v8
	v_and_b32_e32 v2, 0xffff, v2
	v_mul_f64 v[10:11], v[12:13], s[4:5]
	v_lshl_or_b32 v2, v8, 16, v2
	v_mov_b32_e32 v8, s12
	v_add_co_u32_e32 v6, vcc, s13, v6
	v_addc_co_u32_e32 v7, vcc, v7, v8, vcc
	global_store_dword v[6:7], v2, off
	v_and_or_b32 v2, v11, s6, v10
	v_cmp_ne_u32_e32 vcc, 0, v2
	v_cndmask_b32_e64 v2, 0, 1, vcc
	v_lshrrev_b32_e32 v8, 8, v11
	v_bfe_u32 v10, v11, 20, 11
	v_and_or_b32 v2, v8, s7, v2
	v_sub_u32_e32 v12, 0x3f1, v10
	v_or_b32_e32 v8, 0x1000, v2
	v_med3_i32 v12, v12, 0, 13
	v_lshrrev_b32_e32 v13, v12, v8
	v_lshlrev_b32_e32 v12, v12, v13
	v_mul_f16_sdwa v4, v56, v4 dst_sel:DWORD dst_unused:UNUSED_PAD src0_sel:WORD_1 src1_sel:DWORD
	v_cmp_ne_u32_e32 vcc, v12, v8
	v_fma_f16 v4, v56, v14, -v4
	v_cndmask_b32_e64 v8, 0, 1, vcc
	v_add_u32_e32 v10, 0xfffffc10, v10
	v_cvt_f32_f16_e32 v4, v4
	v_or_b32_e32 v8, v13, v8
	v_lshl_or_b32 v12, v10, 12, v2
	v_cmp_gt_i32_e32 vcc, 1, v10
	v_cndmask_b32_e32 v8, v12, v8, vcc
	v_and_b32_e32 v12, 7, v8
	v_cmp_lt_i32_e32 vcc, 5, v12
	v_cmp_eq_u32_e64 s[0:1], 3, v12
	v_cvt_f64_f32_e32 v[12:13], v4
	v_lshrrev_b32_e32 v8, 2, v8
	s_or_b64 vcc, s[0:1], vcc
	v_addc_co_u32_e32 v4, vcc, 0, v8, vcc
	v_mul_f64 v[12:13], v[12:13], s[4:5]
	v_cmp_gt_i32_e32 vcc, 31, v10
	v_cndmask_b32_e32 v4, v3, v4, vcc
	v_cmp_ne_u32_e32 vcc, 0, v2
	v_cndmask_b32_e64 v2, 0, 1, vcc
	v_lshl_or_b32 v2, v2, 9, v3
	v_cmp_eq_u32_e32 vcc, s10, v10
	v_cndmask_b32_e32 v2, v4, v2, vcc
	v_lshrrev_b32_e32 v4, 16, v11
	v_and_or_b32 v2, v4, s11, v2
	v_and_or_b32 v4, v13, s6, v12
	v_cmp_ne_u32_e32 vcc, 0, v4
	v_cndmask_b32_e64 v4, 0, 1, vcc
	v_lshrrev_b32_e32 v8, 8, v13
	v_bfe_u32 v10, v13, 20, 11
	v_and_or_b32 v4, v8, s7, v4
	v_sub_u32_e32 v11, 0x3f1, v10
	v_or_b32_e32 v8, 0x1000, v4
	v_med3_i32 v11, v11, 0, 13
	v_lshrrev_b32_e32 v12, v11, v8
	v_lshlrev_b32_e32 v11, v11, v12
	v_cmp_ne_u32_e32 vcc, v11, v8
	v_cndmask_b32_e64 v8, 0, 1, vcc
	v_add_u32_e32 v10, 0xfffffc10, v10
	v_or_b32_e32 v8, v12, v8
	v_lshl_or_b32 v11, v10, 12, v4
	v_cmp_gt_i32_e32 vcc, 1, v10
	v_cndmask_b32_e32 v8, v11, v8, vcc
	v_and_b32_e32 v11, 7, v8
	v_lshrrev_b32_e32 v12, 16, v9
	v_cmp_lt_i32_e32 vcc, 5, v11
	v_cmp_eq_u32_e64 s[0:1], 3, v11
	v_mul_f16_sdwa v11, v53, v12 dst_sel:DWORD dst_unused:UNUSED_PAD src0_sel:WORD_1 src1_sel:DWORD
	v_fma_f16 v11, v53, v9, v11
	v_lshrrev_b32_e32 v8, 2, v8
	s_or_b64 vcc, s[0:1], vcc
	v_cvt_f32_f16_e32 v11, v11
	v_addc_co_u32_e32 v8, vcc, 0, v8, vcc
	v_cmp_gt_i32_e32 vcc, 31, v10
	v_cndmask_b32_e32 v8, v3, v8, vcc
	v_cmp_ne_u32_e32 vcc, 0, v4
	v_cndmask_b32_e64 v4, 0, 1, vcc
	v_cmp_eq_u32_e32 vcc, s10, v10
	v_cvt_f64_f32_e32 v[10:11], v11
	v_lshl_or_b32 v4, v4, 9, v3
	v_cndmask_b32_e32 v4, v8, v4, vcc
	v_lshrrev_b32_e32 v8, 16, v13
	v_mul_f64 v[10:11], v[10:11], s[4:5]
	v_and_or_b32 v4, v8, s11, v4
	v_and_b32_e32 v2, 0xffff, v2
	v_lshl_or_b32 v2, v4, 16, v2
	v_mov_b32_e32 v4, s2
	v_add_co_u32_e32 v6, vcc, s3, v6
	v_addc_co_u32_e32 v7, vcc, v7, v4, vcc
	global_store_dword v[6:7], v2, off
	v_and_or_b32 v2, v11, s6, v10
	v_cmp_ne_u32_e32 vcc, 0, v2
	v_cndmask_b32_e64 v2, 0, 1, vcc
	v_lshrrev_b32_e32 v4, 8, v11
	v_bfe_u32 v8, v11, 20, 11
	v_and_or_b32 v2, v4, s7, v2
	v_sub_u32_e32 v10, 0x3f1, v8
	v_or_b32_e32 v4, 0x1000, v2
	v_med3_i32 v10, v10, 0, 13
	v_lshrrev_b32_e32 v13, v10, v4
	v_lshlrev_b32_e32 v10, v10, v13
	v_mul_f16_sdwa v9, v53, v9 dst_sel:DWORD dst_unused:UNUSED_PAD src0_sel:WORD_1 src1_sel:DWORD
	v_cmp_ne_u32_e32 vcc, v10, v4
	v_fma_f16 v9, v53, v12, -v9
	v_cndmask_b32_e64 v4, 0, 1, vcc
	v_add_u32_e32 v10, 0xfffffc10, v8
	v_cvt_f32_f16_e32 v9, v9
	v_or_b32_e32 v4, v13, v4
	v_lshl_or_b32 v8, v10, 12, v2
	v_cmp_gt_i32_e32 vcc, 1, v10
	v_cndmask_b32_e32 v4, v8, v4, vcc
	v_and_b32_e32 v8, 7, v4
	v_cmp_lt_i32_e32 vcc, 5, v8
	v_cmp_eq_u32_e64 s[0:1], 3, v8
	v_cvt_f64_f32_e32 v[8:9], v9
	v_lshrrev_b32_e32 v4, 2, v4
	s_or_b64 vcc, s[0:1], vcc
	v_addc_co_u32_e32 v4, vcc, 0, v4, vcc
	v_mul_f64 v[8:9], v[8:9], s[4:5]
	v_cmp_gt_i32_e32 vcc, 31, v10
	v_cndmask_b32_e32 v4, v3, v4, vcc
	v_cmp_ne_u32_e32 vcc, 0, v2
	v_cndmask_b32_e64 v2, 0, 1, vcc
	v_lshl_or_b32 v2, v2, 9, v3
	v_cmp_eq_u32_e32 vcc, s10, v10
	v_cndmask_b32_e32 v2, v4, v2, vcc
	v_lshrrev_b32_e32 v4, 16, v11
	v_and_or_b32 v2, v4, s11, v2
	v_and_or_b32 v4, v9, s6, v8
	v_cmp_ne_u32_e32 vcc, 0, v4
	v_cndmask_b32_e64 v4, 0, 1, vcc
	v_lshrrev_b32_e32 v8, 8, v9
	v_bfe_u32 v10, v9, 20, 11
	v_and_or_b32 v4, v8, s7, v4
	v_sub_u32_e32 v11, 0x3f1, v10
	v_or_b32_e32 v8, 0x1000, v4
	v_med3_i32 v11, v11, 0, 13
	v_lshrrev_b32_e32 v12, v11, v8
	v_lshlrev_b32_e32 v11, v11, v12
	v_cmp_ne_u32_e32 vcc, v11, v8
	v_cndmask_b32_e64 v8, 0, 1, vcc
	v_add_u32_e32 v10, 0xfffffc10, v10
	v_or_b32_e32 v8, v12, v8
	v_lshl_or_b32 v11, v10, 12, v4
	v_cmp_gt_i32_e32 vcc, 1, v10
	v_cndmask_b32_e32 v8, v11, v8, vcc
	v_and_b32_e32 v11, 7, v8
	v_lshrrev_b32_e32 v12, 16, v5
	v_cmp_lt_i32_e32 vcc, 5, v11
	v_cmp_eq_u32_e64 s[0:1], 3, v11
	v_mul_f16_sdwa v11, v54, v12 dst_sel:DWORD dst_unused:UNUSED_PAD src0_sel:WORD_1 src1_sel:DWORD
	v_fma_f16 v11, v54, v5, v11
	v_lshrrev_b32_e32 v8, 2, v8
	s_or_b64 vcc, s[0:1], vcc
	v_cvt_f32_f16_e32 v11, v11
	v_addc_co_u32_e32 v8, vcc, 0, v8, vcc
	v_cmp_gt_i32_e32 vcc, 31, v10
	v_cndmask_b32_e32 v8, v3, v8, vcc
	v_cmp_ne_u32_e32 vcc, 0, v4
	v_cndmask_b32_e64 v4, 0, 1, vcc
	v_cmp_eq_u32_e32 vcc, s10, v10
	v_cvt_f64_f32_e32 v[10:11], v11
	v_lshl_or_b32 v4, v4, 9, v3
	v_cndmask_b32_e32 v4, v8, v4, vcc
	v_lshrrev_b32_e32 v8, 16, v9
	v_and_or_b32 v4, v8, s11, v4
	v_mul_f64 v[8:9], v[10:11], s[4:5]
	v_and_b32_e32 v2, 0xffff, v2
	v_lshl_or_b32 v2, v4, 16, v2
	v_mov_b32_e32 v4, s12
	v_add_co_u32_e32 v6, vcc, s13, v6
	v_addc_co_u32_e32 v7, vcc, v7, v4, vcc
	global_store_dword v[6:7], v2, off
	v_and_or_b32 v2, v9, s6, v8
	v_cmp_ne_u32_e32 vcc, 0, v2
	v_cndmask_b32_e64 v2, 0, 1, vcc
	v_lshrrev_b32_e32 v4, 8, v9
	v_bfe_u32 v8, v9, 20, 11
	v_and_or_b32 v2, v4, s7, v2
	v_sub_u32_e32 v10, 0x3f1, v8
	v_or_b32_e32 v4, 0x1000, v2
	v_med3_i32 v10, v10, 0, 13
	v_lshrrev_b32_e32 v11, v10, v4
	v_lshlrev_b32_e32 v10, v10, v11
	v_mul_f16_sdwa v5, v54, v5 dst_sel:DWORD dst_unused:UNUSED_PAD src0_sel:WORD_1 src1_sel:DWORD
	v_cmp_ne_u32_e32 vcc, v10, v4
	v_fma_f16 v5, v54, v12, -v5
	v_cndmask_b32_e64 v4, 0, 1, vcc
	v_add_u32_e32 v8, 0xfffffc10, v8
	v_cvt_f32_f16_e32 v5, v5
	v_or_b32_e32 v4, v11, v4
	v_lshl_or_b32 v10, v8, 12, v2
	v_cmp_gt_i32_e32 vcc, 1, v8
	v_cndmask_b32_e32 v4, v10, v4, vcc
	v_and_b32_e32 v10, 7, v4
	v_cmp_lt_i32_e32 vcc, 5, v10
	v_cmp_eq_u32_e64 s[0:1], 3, v10
	v_lshrrev_b32_e32 v10, 2, v4
	v_cvt_f64_f32_e32 v[4:5], v5
	s_or_b64 vcc, s[0:1], vcc
	v_addc_co_u32_e32 v10, vcc, 0, v10, vcc
	v_mul_f64 v[4:5], v[4:5], s[4:5]
	v_cmp_gt_i32_e32 vcc, 31, v8
	v_cndmask_b32_e32 v10, v3, v10, vcc
	v_cmp_ne_u32_e32 vcc, 0, v2
	v_cndmask_b32_e64 v2, 0, 1, vcc
	v_lshl_or_b32 v2, v2, 9, v3
	v_cmp_eq_u32_e32 vcc, s10, v8
	v_cndmask_b32_e32 v2, v10, v2, vcc
	v_lshrrev_b32_e32 v8, 16, v9
	v_and_or_b32 v10, v8, s11, v2
	v_and_or_b32 v2, v5, s6, v4
	v_cmp_ne_u32_e32 vcc, 0, v2
	v_cndmask_b32_e64 v2, 0, 1, vcc
	v_lshrrev_b32_e32 v4, 8, v5
	v_bfe_u32 v8, v5, 20, 11
	v_and_or_b32 v4, v4, s7, v2
	v_sub_u32_e32 v9, 0x3f1, v8
	v_or_b32_e32 v2, 0x1000, v4
	v_med3_i32 v9, v9, 0, 13
	v_lshrrev_b32_e32 v11, v9, v2
	v_lshlrev_b32_e32 v9, v9, v11
	v_cmp_ne_u32_e32 vcc, v9, v2
	v_cndmask_b32_e64 v2, 0, 1, vcc
	v_add_u32_e32 v8, 0xfffffc10, v8
	v_or_b32_e32 v2, v11, v2
	v_lshl_or_b32 v9, v8, 12, v4
	v_cmp_gt_i32_e32 vcc, 1, v8
	v_cndmask_b32_e32 v2, v9, v2, vcc
	v_and_b32_e32 v9, 7, v2
	v_cmp_lt_i32_e32 vcc, 5, v9
	v_cmp_eq_u32_e64 s[0:1], 3, v9
	v_lshrrev_b32_e32 v2, 2, v2
	s_or_b64 vcc, s[0:1], vcc
	v_addc_co_u32_e32 v9, vcc, 0, v2, vcc
	ds_read2_b32 v[1:2], v1 offset0:8 offset1:60
	v_cmp_gt_i32_e32 vcc, 31, v8
	v_cndmask_b32_e32 v9, v3, v9, vcc
	v_cmp_ne_u32_e32 vcc, 0, v4
	v_cndmask_b32_e64 v4, 0, 1, vcc
	s_waitcnt lgkmcnt(0)
	v_lshrrev_b32_e32 v11, 16, v1
	v_mul_f16_sdwa v12, v51, v11 dst_sel:DWORD dst_unused:UNUSED_PAD src0_sel:WORD_1 src1_sel:DWORD
	v_fma_f16 v12, v51, v1, v12
	v_cvt_f32_f16_e32 v12, v12
	v_lshl_or_b32 v4, v4, 9, v3
	v_cmp_eq_u32_e32 vcc, s10, v8
	v_cndmask_b32_e32 v4, v9, v4, vcc
	v_cvt_f64_f32_e32 v[8:9], v12
	v_lshrrev_b32_e32 v5, 16, v5
	v_and_or_b32 v12, v5, s11, v4
	v_add_co_u32_e32 v6, vcc, s3, v6
	v_mul_f64 v[4:5], v[8:9], s[4:5]
	v_mov_b32_e32 v9, s2
	v_and_b32_e32 v10, 0xffff, v10
	v_addc_co_u32_e32 v7, vcc, v7, v9, vcc
	v_lshl_or_b32 v8, v12, 16, v10
	global_store_dword v[6:7], v8, off
	v_mul_f16_sdwa v1, v51, v1 dst_sel:DWORD dst_unused:UNUSED_PAD src0_sel:WORD_1 src1_sel:DWORD
	v_and_or_b32 v4, v5, s6, v4
	v_cmp_ne_u32_e32 vcc, 0, v4
	v_cndmask_b32_e64 v4, 0, 1, vcc
	v_lshrrev_b32_e32 v8, 8, v5
	v_bfe_u32 v9, v5, 20, 11
	v_and_or_b32 v4, v8, s7, v4
	v_sub_u32_e32 v10, 0x3f1, v9
	v_or_b32_e32 v8, 0x1000, v4
	v_med3_i32 v10, v10, 0, 13
	v_lshrrev_b32_e32 v12, v10, v8
	v_lshlrev_b32_e32 v10, v10, v12
	v_cmp_ne_u32_e32 vcc, v10, v8
	v_fma_f16 v1, v51, v11, -v1
	v_cndmask_b32_e64 v8, 0, 1, vcc
	v_add_u32_e32 v10, 0xfffffc10, v9
	v_cvt_f32_f16_e32 v1, v1
	v_or_b32_e32 v8, v12, v8
	v_lshl_or_b32 v9, v10, 12, v4
	v_cmp_gt_i32_e32 vcc, 1, v10
	v_cndmask_b32_e32 v8, v9, v8, vcc
	v_and_b32_e32 v9, 7, v8
	v_cmp_lt_i32_e32 vcc, 5, v9
	v_cmp_eq_u32_e64 s[0:1], 3, v9
	v_lshrrev_b32_e32 v11, 2, v8
	v_cvt_f64_f32_e32 v[8:9], v1
	s_or_b64 vcc, s[0:1], vcc
	v_addc_co_u32_e32 v1, vcc, 0, v11, vcc
	v_mul_f64 v[8:9], v[8:9], s[4:5]
	v_cmp_gt_i32_e32 vcc, 31, v10
	v_cndmask_b32_e32 v1, v3, v1, vcc
	v_cmp_ne_u32_e32 vcc, 0, v4
	v_cndmask_b32_e64 v4, 0, 1, vcc
	v_lshl_or_b32 v4, v4, 9, v3
	v_cmp_eq_u32_e32 vcc, s10, v10
	v_cndmask_b32_e32 v1, v1, v4, vcc
	v_lshrrev_b32_e32 v4, 16, v5
	v_and_or_b32 v10, v4, s11, v1
	v_and_or_b32 v1, v9, s6, v8
	v_cmp_ne_u32_e32 vcc, 0, v1
	v_cndmask_b32_e64 v1, 0, 1, vcc
	v_lshrrev_b32_e32 v4, 8, v9
	v_bfe_u32 v5, v9, 20, 11
	v_and_or_b32 v4, v4, s7, v1
	v_sub_u32_e32 v8, 0x3f1, v5
	v_or_b32_e32 v1, 0x1000, v4
	v_med3_i32 v8, v8, 0, 13
	v_lshrrev_b32_e32 v11, v8, v1
	v_lshlrev_b32_e32 v8, v8, v11
	v_cmp_ne_u32_e32 vcc, v8, v1
	v_cndmask_b32_e64 v1, 0, 1, vcc
	v_add_u32_e32 v5, 0xfffffc10, v5
	v_or_b32_e32 v1, v11, v1
	v_lshl_or_b32 v8, v5, 12, v4
	v_cmp_gt_i32_e32 vcc, 1, v5
	v_cndmask_b32_e32 v1, v8, v1, vcc
	v_and_b32_e32 v8, 7, v1
	v_cmp_lt_i32_e32 vcc, 5, v8
	v_cmp_eq_u32_e64 s[0:1], 3, v8
	v_lshrrev_b32_e32 v1, 2, v1
	s_or_b64 vcc, s[0:1], vcc
	v_addc_co_u32_e32 v8, vcc, 0, v1, vcc
	ds_read2_b32 v[0:1], v0 offset0:120 offset1:172
	v_cmp_gt_i32_e32 vcc, 31, v5
	v_cndmask_b32_e32 v8, v3, v8, vcc
	v_cmp_ne_u32_e32 vcc, 0, v4
	v_cndmask_b32_e64 v4, 0, 1, vcc
	s_waitcnt lgkmcnt(0)
	v_lshrrev_b32_e32 v11, 16, v0
	v_mul_f16_sdwa v12, v52, v11 dst_sel:DWORD dst_unused:UNUSED_PAD src0_sel:WORD_1 src1_sel:DWORD
	v_fma_f16 v12, v52, v0, v12
	v_cvt_f32_f16_e32 v12, v12
	v_lshl_or_b32 v4, v4, 9, v3
	v_cmp_eq_u32_e32 vcc, s10, v5
	v_cndmask_b32_e32 v8, v8, v4, vcc
	v_cvt_f64_f32_e32 v[4:5], v12
	v_lshrrev_b32_e32 v9, 16, v9
	v_and_or_b32 v8, v9, s11, v8
	v_and_b32_e32 v9, 0xffff, v10
	v_mul_f64 v[4:5], v[4:5], s[4:5]
	v_lshl_or_b32 v8, v8, 16, v9
	v_mov_b32_e32 v9, s12
	v_add_co_u32_e32 v6, vcc, s13, v6
	v_addc_co_u32_e32 v7, vcc, v7, v9, vcc
	global_store_dword v[6:7], v8, off
	v_and_or_b32 v4, v5, s6, v4
	v_cmp_ne_u32_e32 vcc, 0, v4
	v_cndmask_b32_e64 v4, 0, 1, vcc
	v_lshrrev_b32_e32 v8, 8, v5
	v_bfe_u32 v9, v5, 20, 11
	v_and_or_b32 v4, v8, s7, v4
	v_sub_u32_e32 v10, 0x3f1, v9
	v_or_b32_e32 v8, 0x1000, v4
	v_med3_i32 v10, v10, 0, 13
	v_lshrrev_b32_e32 v12, v10, v8
	v_lshlrev_b32_e32 v10, v10, v12
	v_mul_f16_sdwa v0, v52, v0 dst_sel:DWORD dst_unused:UNUSED_PAD src0_sel:WORD_1 src1_sel:DWORD
	v_cmp_ne_u32_e32 vcc, v10, v8
	v_fma_f16 v0, v52, v11, -v0
	v_cndmask_b32_e64 v8, 0, 1, vcc
	v_add_u32_e32 v10, 0xfffffc10, v9
	v_cvt_f32_f16_e32 v0, v0
	v_or_b32_e32 v8, v12, v8
	v_lshl_or_b32 v9, v10, 12, v4
	v_cmp_gt_i32_e32 vcc, 1, v10
	v_cndmask_b32_e32 v8, v9, v8, vcc
	v_and_b32_e32 v9, 7, v8
	v_cmp_lt_i32_e32 vcc, 5, v9
	v_cmp_eq_u32_e64 s[0:1], 3, v9
	v_lshrrev_b32_e32 v11, 2, v8
	v_cvt_f64_f32_e32 v[8:9], v0
	s_or_b64 vcc, s[0:1], vcc
	v_addc_co_u32_e32 v0, vcc, 0, v11, vcc
	v_mul_f64 v[8:9], v[8:9], s[4:5]
	v_cmp_gt_i32_e32 vcc, 31, v10
	v_cndmask_b32_e32 v0, v3, v0, vcc
	v_cmp_ne_u32_e32 vcc, 0, v4
	v_cndmask_b32_e64 v4, 0, 1, vcc
	v_lshl_or_b32 v4, v4, 9, v3
	v_cmp_eq_u32_e32 vcc, s10, v10
	v_cndmask_b32_e32 v0, v0, v4, vcc
	v_lshrrev_b32_e32 v4, 16, v5
	v_and_or_b32 v0, v4, s11, v0
	v_and_or_b32 v4, v9, s6, v8
	v_cmp_ne_u32_e32 vcc, 0, v4
	v_cndmask_b32_e64 v4, 0, 1, vcc
	v_lshrrev_b32_e32 v5, 8, v9
	v_bfe_u32 v8, v9, 20, 11
	v_and_or_b32 v4, v5, s7, v4
	v_sub_u32_e32 v10, 0x3f1, v8
	v_or_b32_e32 v5, 0x1000, v4
	v_med3_i32 v10, v10, 0, 13
	v_lshrrev_b32_e32 v11, v10, v5
	v_lshlrev_b32_e32 v10, v10, v11
	v_cmp_ne_u32_e32 vcc, v10, v5
	v_cndmask_b32_e64 v5, 0, 1, vcc
	v_add_u32_e32 v8, 0xfffffc10, v8
	v_or_b32_e32 v5, v11, v5
	v_lshl_or_b32 v10, v8, 12, v4
	v_cmp_gt_i32_e32 vcc, 1, v8
	v_cndmask_b32_e32 v5, v10, v5, vcc
	v_and_b32_e32 v10, 7, v5
	v_cmp_lt_i32_e32 vcc, 5, v10
	v_cmp_eq_u32_e64 s[0:1], 3, v10
	v_lshrrev_b32_e32 v10, 16, v2
	v_lshrrev_b32_e32 v5, 2, v5
	s_or_b64 vcc, s[0:1], vcc
	v_mul_f16_sdwa v11, v49, v10 dst_sel:DWORD dst_unused:UNUSED_PAD src0_sel:WORD_1 src1_sel:DWORD
	v_addc_co_u32_e32 v5, vcc, 0, v5, vcc
	v_fma_f16 v11, v49, v2, v11
	v_cmp_gt_i32_e32 vcc, 31, v8
	v_cvt_f32_f16_e32 v11, v11
	v_cndmask_b32_e32 v5, v3, v5, vcc
	v_cmp_ne_u32_e32 vcc, 0, v4
	v_cndmask_b32_e64 v4, 0, 1, vcc
	v_lshl_or_b32 v4, v4, 9, v3
	v_cmp_eq_u32_e32 vcc, s10, v8
	v_cndmask_b32_e32 v8, v5, v4, vcc
	v_cvt_f64_f32_e32 v[4:5], v11
	v_lshrrev_b32_e32 v9, 16, v9
	v_and_or_b32 v8, v9, s11, v8
	v_and_b32_e32 v0, 0xffff, v0
	v_mul_f64 v[4:5], v[4:5], s[4:5]
	v_lshl_or_b32 v0, v8, 16, v0
	v_mov_b32_e32 v8, s2
	v_add_co_u32_e32 v6, vcc, s3, v6
	v_addc_co_u32_e32 v7, vcc, v7, v8, vcc
	global_store_dword v[6:7], v0, off
	v_and_or_b32 v0, v5, s6, v4
	v_cmp_ne_u32_e32 vcc, 0, v0
	v_cndmask_b32_e64 v0, 0, 1, vcc
	v_lshrrev_b32_e32 v4, 8, v5
	v_bfe_u32 v8, v5, 20, 11
	v_and_or_b32 v0, v4, s7, v0
	v_sub_u32_e32 v9, 0x3f1, v8
	v_or_b32_e32 v4, 0x1000, v0
	v_med3_i32 v9, v9, 0, 13
	v_lshrrev_b32_e32 v11, v9, v4
	v_lshlrev_b32_e32 v9, v9, v11
	v_cmp_ne_u32_e32 vcc, v9, v4
	v_mul_f16_sdwa v2, v49, v2 dst_sel:DWORD dst_unused:UNUSED_PAD src0_sel:WORD_1 src1_sel:DWORD
	v_cndmask_b32_e64 v4, 0, 1, vcc
	v_fma_f16 v2, v49, v10, -v2
	v_or_b32_e32 v4, v11, v4
	v_add_u32_e32 v11, 0xfffffc10, v8
	v_cvt_f32_f16_e32 v2, v2
	v_lshl_or_b32 v8, v11, 12, v0
	v_cmp_gt_i32_e32 vcc, 1, v11
	v_cndmask_b32_e32 v4, v8, v4, vcc
	v_and_b32_e32 v8, 7, v4
	v_cmp_lt_i32_e32 vcc, 5, v8
	v_cmp_eq_u32_e64 s[0:1], 3, v8
	v_cvt_f64_f32_e32 v[8:9], v2
	v_lshrrev_b32_e32 v4, 2, v4
	s_or_b64 vcc, s[0:1], vcc
	v_addc_co_u32_e32 v2, vcc, 0, v4, vcc
	v_mul_f64 v[8:9], v[8:9], s[4:5]
	v_cmp_gt_i32_e32 vcc, 31, v11
	v_cndmask_b32_e32 v2, v3, v2, vcc
	v_cmp_ne_u32_e32 vcc, 0, v0
	v_cndmask_b32_e64 v0, 0, 1, vcc
	v_lshl_or_b32 v0, v0, 9, v3
	v_cmp_eq_u32_e32 vcc, s10, v11
	v_cndmask_b32_e32 v0, v2, v0, vcc
	v_lshrrev_b32_e32 v2, 16, v5
	v_and_or_b32 v0, v2, s11, v0
	v_and_or_b32 v2, v9, s6, v8
	v_cmp_ne_u32_e32 vcc, 0, v2
	v_cndmask_b32_e64 v2, 0, 1, vcc
	v_lshrrev_b32_e32 v4, 8, v9
	v_bfe_u32 v5, v9, 20, 11
	v_and_or_b32 v2, v4, s7, v2
	v_sub_u32_e32 v8, 0x3f1, v5
	v_or_b32_e32 v4, 0x1000, v2
	v_med3_i32 v8, v8, 0, 13
	v_lshrrev_b32_e32 v10, v8, v4
	v_lshlrev_b32_e32 v8, v8, v10
	v_cmp_ne_u32_e32 vcc, v8, v4
	v_cndmask_b32_e64 v4, 0, 1, vcc
	v_add_u32_e32 v5, 0xfffffc10, v5
	v_or_b32_e32 v4, v10, v4
	v_lshl_or_b32 v8, v5, 12, v2
	v_cmp_gt_i32_e32 vcc, 1, v5
	v_cndmask_b32_e32 v4, v8, v4, vcc
	v_and_b32_e32 v8, 7, v4
	v_cmp_lt_i32_e32 vcc, 5, v8
	v_cmp_eq_u32_e64 s[0:1], 3, v8
	v_lshrrev_b32_e32 v8, 16, v1
	v_lshrrev_b32_e32 v4, 2, v4
	s_or_b64 vcc, s[0:1], vcc
	v_mul_f16_sdwa v10, v50, v8 dst_sel:DWORD dst_unused:UNUSED_PAD src0_sel:WORD_1 src1_sel:DWORD
	v_addc_co_u32_e32 v4, vcc, 0, v4, vcc
	v_fma_f16 v10, v50, v1, v10
	v_cmp_gt_i32_e32 vcc, 31, v5
	v_cvt_f32_f16_e32 v10, v10
	v_cndmask_b32_e32 v4, v3, v4, vcc
	v_cmp_ne_u32_e32 vcc, 0, v2
	v_cndmask_b32_e64 v2, 0, 1, vcc
	v_lshl_or_b32 v2, v2, 9, v3
	v_cmp_eq_u32_e32 vcc, s10, v5
	v_cndmask_b32_e32 v2, v4, v2, vcc
	v_cvt_f64_f32_e32 v[4:5], v10
	v_lshrrev_b32_e32 v9, 16, v9
	v_and_or_b32 v2, v9, s11, v2
	v_and_b32_e32 v0, 0xffff, v0
	v_mul_f64 v[4:5], v[4:5], s[4:5]
	v_lshl_or_b32 v0, v2, 16, v0
	v_mov_b32_e32 v2, s12
	v_add_co_u32_e32 v6, vcc, s13, v6
	v_addc_co_u32_e32 v7, vcc, v7, v2, vcc
	global_store_dword v[6:7], v0, off
	v_and_or_b32 v0, v5, s6, v4
	v_cmp_ne_u32_e32 vcc, 0, v0
	v_cndmask_b32_e64 v0, 0, 1, vcc
	v_lshrrev_b32_e32 v2, 8, v5
	v_bfe_u32 v4, v5, 20, 11
	v_and_or_b32 v2, v2, s7, v0
	v_sub_u32_e32 v9, 0x3f1, v4
	v_or_b32_e32 v0, 0x1000, v2
	v_med3_i32 v9, v9, 0, 13
	v_lshrrev_b32_e32 v10, v9, v0
	v_mul_f16_sdwa v1, v50, v1 dst_sel:DWORD dst_unused:UNUSED_PAD src0_sel:WORD_1 src1_sel:DWORD
	v_lshlrev_b32_e32 v9, v9, v10
	v_fma_f16 v1, v50, v8, -v1
	v_cmp_ne_u32_e32 vcc, v9, v0
	v_cvt_f32_f16_e32 v1, v1
	v_cndmask_b32_e64 v0, 0, 1, vcc
	v_add_u32_e32 v4, 0xfffffc10, v4
	v_or_b32_e32 v0, v10, v0
	v_lshl_or_b32 v9, v4, 12, v2
	v_cmp_gt_i32_e32 vcc, 1, v4
	v_cndmask_b32_e32 v0, v9, v0, vcc
	v_and_b32_e32 v9, 7, v0
	v_lshrrev_b32_e32 v8, 2, v0
	v_cvt_f64_f32_e32 v[0:1], v1
	v_cmp_lt_i32_e32 vcc, 5, v9
	v_cmp_eq_u32_e64 s[0:1], 3, v9
	s_or_b64 vcc, s[0:1], vcc
	v_mul_f64 v[0:1], v[0:1], s[4:5]
	v_addc_co_u32_e32 v8, vcc, 0, v8, vcc
	v_cmp_gt_i32_e32 vcc, 31, v4
	v_cndmask_b32_e32 v8, v3, v8, vcc
	v_cmp_ne_u32_e32 vcc, 0, v2
	v_cndmask_b32_e64 v2, 0, 1, vcc
	v_lshl_or_b32 v2, v2, 9, v3
	v_cmp_eq_u32_e32 vcc, s10, v4
	v_and_or_b32 v0, v1, s6, v0
	v_cndmask_b32_e32 v2, v8, v2, vcc
	v_lshrrev_b32_e32 v4, 16, v5
	v_cmp_ne_u32_e32 vcc, 0, v0
	v_and_or_b32 v2, v4, s11, v2
	v_cndmask_b32_e64 v0, 0, 1, vcc
	v_lshrrev_b32_e32 v4, 8, v1
	v_bfe_u32 v5, v1, 20, 11
	v_and_or_b32 v0, v4, s7, v0
	v_sub_u32_e32 v8, 0x3f1, v5
	v_or_b32_e32 v4, 0x1000, v0
	v_med3_i32 v8, v8, 0, 13
	v_lshrrev_b32_e32 v9, v8, v4
	v_lshlrev_b32_e32 v8, v8, v9
	v_cmp_ne_u32_e32 vcc, v8, v4
	v_cndmask_b32_e64 v4, 0, 1, vcc
	v_add_u32_e32 v5, 0xfffffc10, v5
	v_or_b32_e32 v4, v9, v4
	v_lshl_or_b32 v8, v5, 12, v0
	v_cmp_gt_i32_e32 vcc, 1, v5
	v_cndmask_b32_e32 v4, v8, v4, vcc
	v_and_b32_e32 v8, 7, v4
	v_cmp_lt_i32_e32 vcc, 5, v8
	v_cmp_eq_u32_e64 s[0:1], 3, v8
	v_lshrrev_b32_e32 v4, 2, v4
	s_or_b64 vcc, s[0:1], vcc
	v_addc_co_u32_e32 v4, vcc, 0, v4, vcc
	v_cmp_gt_i32_e32 vcc, 31, v5
	v_cndmask_b32_e32 v4, v3, v4, vcc
	v_cmp_ne_u32_e32 vcc, 0, v0
	v_cndmask_b32_e64 v0, 0, 1, vcc
	v_lshl_or_b32 v0, v0, 9, v3
	v_cmp_eq_u32_e32 vcc, s10, v5
	v_cndmask_b32_e32 v0, v4, v0, vcc
	v_lshrrev_b32_e32 v1, 16, v1
	v_and_or_b32 v0, v1, s11, v0
	v_and_b32_e32 v1, 0xffff, v2
	v_lshl_or_b32 v2, v0, 16, v1
	v_mov_b32_e32 v1, s2
	v_add_co_u32_e32 v0, vcc, s3, v6
	v_addc_co_u32_e32 v1, vcc, v7, v1, vcc
	global_store_dword v[0:1], v2, off
.LBB0_10:
	s_endpgm
	.section	.rodata,"a",@progbits
	.p2align	6, 0x0
	.amdhsa_kernel bluestein_single_fwd_len1248_dim1_half_op_CI_CI
		.amdhsa_group_segment_fixed_size 4992
		.amdhsa_private_segment_fixed_size 0
		.amdhsa_kernarg_size 104
		.amdhsa_user_sgpr_count 6
		.amdhsa_user_sgpr_private_segment_buffer 1
		.amdhsa_user_sgpr_dispatch_ptr 0
		.amdhsa_user_sgpr_queue_ptr 0
		.amdhsa_user_sgpr_kernarg_segment_ptr 1
		.amdhsa_user_sgpr_dispatch_id 0
		.amdhsa_user_sgpr_flat_scratch_init 0
		.amdhsa_user_sgpr_private_segment_size 0
		.amdhsa_uses_dynamic_stack 0
		.amdhsa_system_sgpr_private_segment_wavefront_offset 0
		.amdhsa_system_sgpr_workgroup_id_x 1
		.amdhsa_system_sgpr_workgroup_id_y 0
		.amdhsa_system_sgpr_workgroup_id_z 0
		.amdhsa_system_sgpr_workgroup_info 0
		.amdhsa_system_vgpr_workitem_id 0
		.amdhsa_next_free_vgpr 226
		.amdhsa_next_free_sgpr 30
		.amdhsa_reserve_vcc 1
		.amdhsa_reserve_flat_scratch 0
		.amdhsa_float_round_mode_32 0
		.amdhsa_float_round_mode_16_64 0
		.amdhsa_float_denorm_mode_32 3
		.amdhsa_float_denorm_mode_16_64 3
		.amdhsa_dx10_clamp 1
		.amdhsa_ieee_mode 1
		.amdhsa_fp16_overflow 0
		.amdhsa_exception_fp_ieee_invalid_op 0
		.amdhsa_exception_fp_denorm_src 0
		.amdhsa_exception_fp_ieee_div_zero 0
		.amdhsa_exception_fp_ieee_overflow 0
		.amdhsa_exception_fp_ieee_underflow 0
		.amdhsa_exception_fp_ieee_inexact 0
		.amdhsa_exception_int_div_zero 0
	.end_amdhsa_kernel
	.text
.Lfunc_end0:
	.size	bluestein_single_fwd_len1248_dim1_half_op_CI_CI, .Lfunc_end0-bluestein_single_fwd_len1248_dim1_half_op_CI_CI
                                        ; -- End function
	.section	.AMDGPU.csdata,"",@progbits
; Kernel info:
; codeLenInByte = 44524
; NumSgprs: 34
; NumVgprs: 226
; ScratchSize: 0
; MemoryBound: 0
; FloatMode: 240
; IeeeMode: 1
; LDSByteSize: 4992 bytes/workgroup (compile time only)
; SGPRBlocks: 4
; VGPRBlocks: 56
; NumSGPRsForWavesPerEU: 34
; NumVGPRsForWavesPerEU: 226
; Occupancy: 1
; WaveLimiterHint : 1
; COMPUTE_PGM_RSRC2:SCRATCH_EN: 0
; COMPUTE_PGM_RSRC2:USER_SGPR: 6
; COMPUTE_PGM_RSRC2:TRAP_HANDLER: 0
; COMPUTE_PGM_RSRC2:TGID_X_EN: 1
; COMPUTE_PGM_RSRC2:TGID_Y_EN: 0
; COMPUTE_PGM_RSRC2:TGID_Z_EN: 0
; COMPUTE_PGM_RSRC2:TIDIG_COMP_CNT: 0
	.type	__hip_cuid_6298c18fce2562dc,@object ; @__hip_cuid_6298c18fce2562dc
	.section	.bss,"aw",@nobits
	.globl	__hip_cuid_6298c18fce2562dc
__hip_cuid_6298c18fce2562dc:
	.byte	0                               ; 0x0
	.size	__hip_cuid_6298c18fce2562dc, 1

	.ident	"AMD clang version 19.0.0git (https://github.com/RadeonOpenCompute/llvm-project roc-6.4.0 25133 c7fe45cf4b819c5991fe208aaa96edf142730f1d)"
	.section	".note.GNU-stack","",@progbits
	.addrsig
	.addrsig_sym __hip_cuid_6298c18fce2562dc
	.amdgpu_metadata
---
amdhsa.kernels:
  - .args:
      - .actual_access:  read_only
        .address_space:  global
        .offset:         0
        .size:           8
        .value_kind:     global_buffer
      - .actual_access:  read_only
        .address_space:  global
        .offset:         8
        .size:           8
        .value_kind:     global_buffer
      - .actual_access:  read_only
        .address_space:  global
        .offset:         16
        .size:           8
        .value_kind:     global_buffer
      - .actual_access:  read_only
        .address_space:  global
        .offset:         24
        .size:           8
        .value_kind:     global_buffer
      - .actual_access:  read_only
        .address_space:  global
        .offset:         32
        .size:           8
        .value_kind:     global_buffer
      - .offset:         40
        .size:           8
        .value_kind:     by_value
      - .address_space:  global
        .offset:         48
        .size:           8
        .value_kind:     global_buffer
      - .address_space:  global
        .offset:         56
        .size:           8
        .value_kind:     global_buffer
      - .address_space:  global
        .offset:         64
        .size:           8
        .value_kind:     global_buffer
      - .address_space:  global
        .offset:         72
        .size:           8
        .value_kind:     global_buffer
      - .offset:         80
        .size:           4
        .value_kind:     by_value
      - .address_space:  global
        .offset:         88
        .size:           8
        .value_kind:     global_buffer
      - .address_space:  global
        .offset:         96
        .size:           8
        .value_kind:     global_buffer
    .group_segment_fixed_size: 4992
    .kernarg_segment_align: 8
    .kernarg_segment_size: 104
    .language:       OpenCL C
    .language_version:
      - 2
      - 0
    .max_flat_workgroup_size: 52
    .name:           bluestein_single_fwd_len1248_dim1_half_op_CI_CI
    .private_segment_fixed_size: 0
    .sgpr_count:     34
    .sgpr_spill_count: 0
    .symbol:         bluestein_single_fwd_len1248_dim1_half_op_CI_CI.kd
    .uniform_work_group_size: 1
    .uses_dynamic_stack: false
    .vgpr_count:     226
    .vgpr_spill_count: 0
    .wavefront_size: 64
amdhsa.target:   amdgcn-amd-amdhsa--gfx906
amdhsa.version:
  - 1
  - 2
...

	.end_amdgpu_metadata
